;; amdgpu-corpus repo=zjin-lcf/HeCBench kind=compiled arch=gfx1100 opt=O3
	.text
	.amdgcn_target "amdgcn-amd-amdhsa--gfx1100"
	.amdhsa_code_object_version 6
	.p2align	2                               ; -- Begin function _Z15cuda_rys_pbf_dpPKdS0_S0_S0_
	.type	_Z15cuda_rys_pbf_dpPKdS0_S0_S0_,@function
_Z15cuda_rys_pbf_dpPKdS0_S0_S0_:        ; @_Z15cuda_rys_pbf_dpPKdS0_S0_S0_
; %bb.0:
	s_waitcnt vmcnt(0) expcnt(0) lgkmcnt(0)
	s_mov_b32 s0, s33
	s_mov_b32 s33, s32
	s_or_saveexec_b32 s1, -1
	s_clause 0x4
	scratch_store_b32 off, v191, s33 offset:996
	; meta instruction
	scratch_store_b32 off, v190, s33 offset:1000
	; meta instruction
	;; [unrolled: 2-line block ×4, first 2 shown]
	scratch_store_b32 off, v188, s33 offset:1012
	s_mov_b32 exec_lo, s1
	v_writelane_b32 v189, s0, 9
	s_addk_i32 s32, 0x400
	s_clause 0x1f
	scratch_store_b32 off, v40, s33 offset:296
	; meta instruction
	scratch_store_b32 off, v41, s33 offset:292
	; meta instruction
	;; [unrolled: 2-line block ×31, first 2 shown]
	scratch_store_b32 off, v95, s33 offset:172
	s_clause 0x1f
	scratch_store_b32 off, v104, s33 offset:168
	; meta instruction
	scratch_store_b32 off, v105, s33 offset:164
	; meta instruction
	scratch_store_b32 off, v106, s33 offset:160
	; meta instruction
	scratch_store_b32 off, v107, s33 offset:156
	; meta instruction
	scratch_store_b32 off, v108, s33 offset:152
	; meta instruction
	scratch_store_b32 off, v109, s33 offset:148
	; meta instruction
	scratch_store_b32 off, v110, s33 offset:144
	; meta instruction
	scratch_store_b32 off, v111, s33 offset:140
	; meta instruction
	scratch_store_b32 off, v120, s33 offset:136
	; meta instruction
	scratch_store_b32 off, v121, s33 offset:132
	; meta instruction
	scratch_store_b32 off, v122, s33 offset:128
	; meta instruction
	scratch_store_b32 off, v123, s33 offset:124
	; meta instruction
	scratch_store_b32 off, v124, s33 offset:120
	; meta instruction
	scratch_store_b32 off, v125, s33 offset:116
	; meta instruction
	scratch_store_b32 off, v126, s33 offset:112
	; meta instruction
	scratch_store_b32 off, v127, s33 offset:108
	; meta instruction
	scratch_store_b32 off, v136, s33 offset:104
	; meta instruction
	scratch_store_b32 off, v137, s33 offset:100
	; meta instruction
	scratch_store_b32 off, v138, s33 offset:96
	; meta instruction
	scratch_store_b32 off, v139, s33 offset:92
	; meta instruction
	scratch_store_b32 off, v140, s33 offset:88
	; meta instruction
	scratch_store_b32 off, v141, s33 offset:84
	; meta instruction
	scratch_store_b32 off, v142, s33 offset:80
	; meta instruction
	scratch_store_b32 off, v143, s33 offset:76
	; meta instruction
	scratch_store_b32 off, v152, s33 offset:72
	; meta instruction
	scratch_store_b32 off, v153, s33 offset:68
	; meta instruction
	scratch_store_b32 off, v154, s33 offset:64
	; meta instruction
	scratch_store_b32 off, v155, s33 offset:60
	; meta instruction
	scratch_store_b32 off, v156, s33 offset:56
	; meta instruction
	scratch_store_b32 off, v157, s33 offset:52
	; meta instruction
	scratch_store_b32 off, v158, s33 offset:48
	; meta instruction
	scratch_store_b32 off, v159, s33 offset:44
	s_clause 0xa
	scratch_store_b32 off, v168, s33 offset:40
	; meta instruction
	scratch_store_b32 off, v169, s33 offset:36
	; meta instruction
	;; [unrolled: 2-line block ×10, first 2 shown]
	scratch_store_b32 off, v186, s33
	v_writelane_b32 v191, s34, 0
	v_writelane_b32 v191, s35, 1
	;; [unrolled: 1-line block ×73, first 2 shown]
	v_mov_b32_e32 v40, v31
	s_clause 0x2
	flat_load_b128 v[56:59], v[2:3] offset:48
	flat_load_b128 v[28:31], v[2:3]
	flat_load_b128 v[24:27], v[2:3] offset:16
	s_clause 0x1
	flat_load_b128 v[36:39], v[6:7]
	flat_load_b128 v[60:63], v[6:7] offset:48
	s_clause 0x2
	flat_load_b128 v[72:75], v[0:1] offset:48
	flat_load_b128 v[16:19], v[0:1]
	flat_load_b128 v[8:11], v[0:1] offset:16
	s_clause 0x1
	flat_load_b128 v[76:79], v[4:5] offset:48
	flat_load_b128 v[20:23], v[4:5]
	flat_load_b128 v[32:35], v[6:7] offset:16
	flat_load_b128 v[12:15], v[4:5] offset:16
	s_mov_b64 s[22:23], s[4:5]
	s_mov_b64 s[24:25], s[6:7]
	s_mov_b32 s43, s15
	s_mov_b32 s76, s13
	;; [unrolled: 1-line block ×3, first 2 shown]
	s_mov_b64 s[26:27], s[8:9]
	s_waitcnt vmcnt(10) lgkmcnt(10)
	v_mul_f64 v[48:49], v[28:29], v[56:57]
	v_mul_f64 v[50:51], v[30:31], v[56:57]
	s_waitcnt vmcnt(9) lgkmcnt(9)
	v_mul_f64 v[52:53], v[24:25], v[56:57]
	s_waitcnt vmcnt(7) lgkmcnt(7)
	v_mul_f64 v[54:55], v[36:37], v[60:61]
	v_mul_f64 v[68:69], v[38:39], v[60:61]
	s_waitcnt vmcnt(6) lgkmcnt(6)
	v_add_f64 v[64:65], v[72:73], v[56:57]
	s_waitcnt vmcnt(3) lgkmcnt(3)
	v_add_f64 v[66:67], v[76:77], v[60:61]
	v_fma_f64 v[70:71], v[16:17], v[72:73], v[48:49]
	v_fma_f64 v[80:81], v[18:19], v[72:73], v[50:51]
	;; [unrolled: 1-line block ×3, first 2 shown]
	s_waitcnt vmcnt(2) lgkmcnt(2)
	v_fma_f64 v[84:85], v[20:21], v[76:77], v[54:55]
	v_fma_f64 v[82:83], v[22:23], v[76:77], v[68:69]
	s_waitcnt vmcnt(1) lgkmcnt(1)
	v_mul_f64 v[48:49], v[32:33], v[60:61]
	v_mul_f64 v[96:97], v[64:65], v[66:67]
	v_add_f64 v[88:89], v[64:65], v[66:67]
	v_div_scale_f64 v[68:69], null, v[64:65], v[64:65], v[70:71]
	v_div_scale_f64 v[98:99], null, v[64:65], v[64:65], v[80:81]
	v_div_scale_f64 v[100:101], null, v[64:65], v[64:65], v[86:87]
	v_div_scale_f64 v[102:103], null, v[66:67], v[66:67], v[84:85]
	v_div_scale_f64 v[112:113], null, v[66:67], v[66:67], v[82:83]
	s_waitcnt vmcnt(0) lgkmcnt(0)
	v_fma_f64 v[118:119], v[12:13], v[76:77], v[48:49]
	v_div_scale_f64 v[178:179], vcc_lo, v[70:71], v[64:65], v[70:71]
	v_rcp_f64_e32 v[50:51], v[68:69]
	v_rcp_f64_e32 v[52:53], v[98:99]
	;; [unrolled: 1-line block ×3, first 2 shown]
	s_delay_alu instid0(VALU_DEP_4) | instskip(NEXT) | instid1(VALU_DEP_3)
	v_rcp_f64_e32 v[114:115], v[102:103]
	v_rcp_f64_e32 v[116:117], v[112:113]
	s_delay_alu instid0(VALU_DEP_2) | instskip(SKIP_2) | instid1(TRANS32_DEP_3)
	v_div_scale_f64 v[144:145], null, v[66:67], v[66:67], v[118:119]
	v_fma_f64 v[48:49], -v[68:69], v[50:51], 1.0
	v_fma_f64 v[128:129], -v[98:99], v[52:53], 1.0
	;; [unrolled: 1-line block ×3, first 2 shown]
	s_waitcnt_depctr 0xfff
	v_fma_f64 v[132:133], -v[102:103], v[114:115], 1.0
	v_fma_f64 v[134:135], -v[112:113], v[116:117], 1.0
	v_fma_f64 v[146:147], v[50:51], v[48:49], v[50:51]
	flat_load_b128 v[48:51], v[0:1] offset:32
	v_fma_f64 v[128:129], v[52:53], v[128:129], v[52:53]
	v_fma_f64 v[130:131], v[54:55], v[130:131], v[54:55]
	flat_load_b128 v[0:3], v[2:3] offset:32
	flat_load_b128 v[52:55], v[4:5] offset:32
	v_fma_f64 v[114:115], v[114:115], v[132:133], v[114:115]
	v_rcp_f64_e32 v[132:133], v[144:145]
	v_fma_f64 v[116:117], v[116:117], v[134:135], v[116:117]
	v_div_scale_f64 v[134:135], null, v[88:89], v[88:89], v[96:97]
	flat_load_b128 v[4:7], v[6:7] offset:32
	v_fma_f64 v[148:149], -v[68:69], v[146:147], 1.0
	v_fma_f64 v[150:151], -v[98:99], v[128:129], 1.0
	;; [unrolled: 1-line block ×6, first 2 shown]
	v_rcp_f64_e32 v[176:177], v[134:135]
	v_fma_f64 v[146:147], v[146:147], v[148:149], v[146:147]
	v_div_scale_f64 v[148:149], s0, v[80:81], v[64:65], v[80:81]
	v_fma_f64 v[128:129], v[128:129], v[150:151], v[128:129]
	v_div_scale_f64 v[150:151], s1, v[86:87], v[64:65], v[86:87]
	;; [unrolled: 2-line block ×4, first 2 shown]
	v_fma_f64 v[116:117], v[116:117], v[164:165], v[116:117]
	v_fma_f64 v[132:133], v[132:133], v[166:167], v[132:133]
	s_delay_alu instid0(TRANS32_DEP_1)
	v_fma_f64 v[164:165], -v[134:135], v[176:177], 1.0
	v_mul_f64 v[166:167], v[178:179], v[146:147]
	v_mul_f64 v[180:181], v[148:149], v[128:129]
	;; [unrolled: 1-line block ×5, first 2 shown]
	v_fma_f64 v[45:46], -v[144:145], v[132:133], 1.0
	v_fma_f64 v[164:165], v[176:177], v[164:165], v[176:177]
	v_fma_f64 v[68:69], -v[68:69], v[166:167], v[178:179]
	v_fma_f64 v[98:99], -v[98:99], v[180:181], v[148:149]
	v_div_scale_f64 v[148:149], s4, v[118:119], v[66:67], v[118:119]
	v_fma_f64 v[100:101], -v[100:101], v[182:183], v[150:151]
	v_fma_f64 v[102:103], -v[102:103], v[41:42], v[160:161]
	v_fma_f64 v[112:113], -v[112:113], v[43:44], v[162:163]
	v_fma_f64 v[132:133], v[132:133], v[45:46], v[132:133]
	v_fma_f64 v[150:151], -v[134:135], v[164:165], 1.0
	v_div_fmas_f64 v[146:147], v[68:69], v[146:147], v[166:167]
	s_mov_b32 vcc_lo, s0
	v_div_fmas_f64 v[68:69], v[98:99], v[128:129], v[180:181]
	s_mov_b32 vcc_lo, s1
	;; [unrolled: 2-line block ×4, first 2 shown]
	v_div_scale_f64 v[114:115], s0, v[96:97], v[88:89], v[96:97]
	v_div_fmas_f64 v[102:103], v[112:113], v[116:117], v[43:44]
	v_mul_f64 v[112:113], v[148:149], v[132:133]
	v_fma_f64 v[116:117], v[164:165], v[150:151], v[164:165]
	s_mov_b32 vcc_lo, s4
	v_cvt_i32_f64_e32 v41, v[26:27]
	v_cvt_i32_f64_e32 v44, v[34:35]
	v_div_fixup_f64 v[70:71], v[146:147], v[64:65], v[70:71]
	v_div_fixup_f64 v[68:69], v[68:69], v[64:65], v[80:81]
	v_div_fixup_f64 v[84:85], v[100:101], v[66:67], v[84:85]
	v_div_fixup_f64 v[82:83], v[102:103], v[66:67], v[82:83]
	v_fma_f64 v[80:81], -v[144:145], v[112:113], v[148:149]
	v_mul_f64 v[102:103], v[114:115], v[116:117]
	s_delay_alu instid0(VALU_DEP_3) | instskip(NEXT) | instid1(VALU_DEP_3)
	v_add_f64 v[100:101], v[68:69], -v[82:83]
	v_div_fmas_f64 v[112:113], v[80:81], v[132:133], v[112:113]
	s_delay_alu instid0(VALU_DEP_3)
	v_fma_f64 v[114:115], -v[134:135], v[102:103], v[114:115]
	v_div_fixup_f64 v[80:81], v[98:99], v[64:65], v[86:87]
	v_add_f64 v[98:99], v[70:71], -v[84:85]
	s_mov_b32 vcc_lo, s0
	v_mul_f64 v[100:101], v[100:101], v[100:101]
	v_div_fixup_f64 v[86:87], v[112:113], v[66:67], v[118:119]
	v_div_fmas_f64 v[112:113], v[114:115], v[116:117], v[102:103]
	v_cvt_i32_f64_e32 v103, v[10:11]
	s_waitcnt vmcnt(3) lgkmcnt(3)
	v_cvt_i32_f64_e32 v102, v[48:49]
	s_waitcnt vmcnt(2) lgkmcnt(2)
	v_cvt_i32_f64_e32 v106, v[0:1]
	v_cvt_i32_f64_e32 v43, v[2:3]
	s_waitcnt vmcnt(0) lgkmcnt(0)
	v_cvt_i32_f64_e32 v45, v[4:5]
	v_cvt_i32_f64_e32 v46, v[6:7]
	v_fma_f64 v[99:100], v[98:99], v[98:99], v[100:101]
	v_add_f64 v[114:115], v[80:81], -v[86:87]
	v_cvt_i32_f64_e32 v98, v[50:51]
	v_div_fixup_f64 v[26:27], v[112:113], v[88:89], v[96:97]
	v_cvt_i32_f64_e32 v101, v[54:55]
	v_add_nc_u32_e32 v0, v102, v103
	scratch_store_b64 off, v[88:89], s33 offset:824 ; 8-byte Folded Spill
	v_fma_f64 v[10:11], v[114:115], v[114:115], v[99:100]
	v_cvt_i32_f64_e32 v99, v[14:15]
	scratch_store_b64 off, v[26:27], s33 offset:924 ; 8-byte Folded Spill
	v_cvt_i32_f64_e32 v100, v[52:53]
	v_add3_u32 v0, v0, v98, v41
	s_delay_alu instid0(VALU_DEP_1) | instskip(SKIP_1) | instid1(VALU_DEP_2)
	v_add3_u32 v0, v0, v106, v43
	v_mul_f64 v[10:11], v[26:27], v[10:11]
	v_add3_u32 v0, v0, v99, v100
	s_delay_alu instid0(VALU_DEP_1) | instskip(NEXT) | instid1(VALU_DEP_1)
	v_add3_u32 v0, v0, v101, v44
	v_add3_u32 v112, v0, v45, v46
	s_delay_alu instid0(VALU_DEP_1) | instskip(SKIP_1) | instid1(VALU_DEP_2)
	v_lshrrev_b32_e32 v0, 31, v112
	v_cmp_lt_i32_e32 vcc_lo, 5, v112
	v_add_nc_u32_e32 v0, v112, v0
	s_delay_alu instid0(VALU_DEP_1) | instskip(SKIP_1) | instid1(SALU_CYCLE_1)
	v_ashrrev_i32_e32 v107, 1, v0
	s_and_saveexec_b32 s0, vcc_lo
                                        ; implicit-def: $vgpr187 : SGPR spill to VGPR lane
	s_xor_b32 s28, exec_lo, s0
	v_writelane_b32 v187, s24, 0
	s_mov_b64 s[44:45], s[8:9]
	s_mov_b64 s[40:41], s[22:23]
	v_writelane_b32 v187, s25, 1
	v_writelane_b32 v187, s10, 2
	;; [unrolled: 1-line block ×3, first 2 shown]
	s_cbranch_execz .LBB0_82
; %bb.1:
	s_mov_b32 s0, exec_lo
	v_cmpx_lt_i32_e32 3, v107
	s_xor_b32 s29, exec_lo, s0
	s_cbranch_execz .LBB0_41
; %bb.2:
	s_mov_b32 vcc_hi, exec_lo
	v_cmpx_eq_u32_e32 4, v107
	s_cbranch_execz .LBB0_40
; %bb.3:
	s_mov_b32 s0, 0xf40d8376
	s_mov_b32 s1, 0x3e9421f5
                                        ; implicit-def: $vgpr0_vgpr1
                                        ; implicit-def: $vgpr26_vgpr27
                                        ; implicit-def: $vgpr50_vgpr51
                                        ; implicit-def: $vgpr54_vgpr55
                                        ; implicit-def: $vgpr14_vgpr15
                                        ; implicit-def: $vgpr6_vgpr7
	s_delay_alu instid0(SALU_CYCLE_1) | instskip(SKIP_1) | instid1(SALU_CYCLE_1)
	v_cmp_ngt_f64_e32 vcc_lo, s[0:1], v[10:11]
	s_and_saveexec_b32 s0, vcc_lo
	s_xor_b32 s30, exec_lo, s0
	s_cbranch_execz .LBB0_37
; %bb.4:
                                        ; implicit-def: $vgpr0_vgpr1
                                        ; implicit-def: $vgpr26_vgpr27
                                        ; implicit-def: $vgpr50_vgpr51
                                        ; implicit-def: $vgpr54_vgpr55
                                        ; implicit-def: $vgpr14_vgpr15
                                        ; implicit-def: $vgpr6_vgpr7
	s_mov_b32 s0, exec_lo
	v_cmpx_ngt_f64_e32 1.0, v[10:11]
	s_xor_b32 s31, exec_lo, s0
	s_cbranch_execz .LBB0_34
; %bb.5:
                                        ; implicit-def: $vgpr0_vgpr1
                                        ; implicit-def: $vgpr26_vgpr27
                                        ; implicit-def: $vgpr50_vgpr51
                                        ; implicit-def: $vgpr54_vgpr55
                                        ; implicit-def: $vgpr14_vgpr15
                                        ; implicit-def: $vgpr6_vgpr7
	s_mov_b32 s0, exec_lo
	v_cmpx_ngt_f64_e32 0x40140000, v[10:11]
	s_xor_b32 s34, exec_lo, s0
	s_cbranch_execz .LBB0_31
; %bb.6:
                                        ; implicit-def: $vgpr0_vgpr1
                                        ; implicit-def: $vgpr26_vgpr27
                                        ; implicit-def: $vgpr50_vgpr51
                                        ; implicit-def: $vgpr54_vgpr55
                                        ; implicit-def: $vgpr14_vgpr15
                                        ; implicit-def: $vgpr6_vgpr7
	s_mov_b32 s0, exec_lo
	v_cmpx_ngt_f64_e32 0x40240000, v[10:11]
	;; [unrolled: 11-line block ×6, first 2 shown]
	s_xor_b32 s49, exec_lo, s0
	s_cbranch_execz .LBB0_16
; %bb.11:
	s_mov_b32 s0, 0x54442d15
	s_mov_b32 s1, 0x3fe921fb
                                        ; implicit-def: $vgpr26_vgpr27
                                        ; implicit-def: $vgpr50_vgpr51
                                        ; implicit-def: $vgpr54_vgpr55
                                        ; implicit-def: $vgpr14_vgpr15
	s_delay_alu instid0(SALU_CYCLE_1) | instskip(SKIP_1) | instid1(VALU_DEP_2)
	v_div_scale_f64 v[0:1], null, v[10:11], v[10:11], s[0:1]
	v_div_scale_f64 v[6:7], vcc_lo, s[0:1], v[10:11], s[0:1]
	v_rcp_f64_e32 v[2:3], v[0:1]
	s_waitcnt_depctr 0xfff
	v_fma_f64 v[4:5], -v[0:1], v[2:3], 1.0
	s_delay_alu instid0(VALU_DEP_1) | instskip(NEXT) | instid1(VALU_DEP_1)
	v_fma_f64 v[2:3], v[2:3], v[4:5], v[2:3]
	v_fma_f64 v[4:5], -v[0:1], v[2:3], 1.0
	s_delay_alu instid0(VALU_DEP_1) | instskip(NEXT) | instid1(VALU_DEP_1)
	v_fma_f64 v[2:3], v[2:3], v[4:5], v[2:3]
	v_mul_f64 v[4:5], v[6:7], v[2:3]
	s_delay_alu instid0(VALU_DEP_1) | instskip(NEXT) | instid1(VALU_DEP_1)
	v_fma_f64 v[0:1], -v[0:1], v[4:5], v[6:7]
	v_div_fmas_f64 v[0:1], v[0:1], v[2:3], v[4:5]
	s_delay_alu instid0(VALU_DEP_1) | instskip(SKIP_1) | instid1(VALU_DEP_2)
	v_div_fixup_f64 v[0:1], v[0:1], v[10:11], s[0:1]
	v_cmp_ngt_f64_e64 s0, 0x404d8000, v[10:11]
	v_cmp_gt_f64_e32 vcc_lo, 0x10000000, v[0:1]
	v_cndmask_b32_e64 v2, 0, 1, vcc_lo
	s_delay_alu instid0(VALU_DEP_1) | instskip(NEXT) | instid1(VALU_DEP_1)
	v_lshlrev_b32_e32 v2, 8, v2
	v_ldexp_f64 v[0:1], v[0:1], v2
	s_delay_alu instid0(VALU_DEP_1) | instskip(SKIP_3) | instid1(VALU_DEP_1)
	v_rsq_f64_e32 v[2:3], v[0:1]
	s_waitcnt_depctr 0xfff
	v_mul_f64 v[4:5], v[0:1], v[2:3]
	v_mul_f64 v[2:3], v[2:3], 0.5
	v_fma_f64 v[6:7], -v[2:3], v[4:5], 0.5
	s_delay_alu instid0(VALU_DEP_1) | instskip(SKIP_1) | instid1(VALU_DEP_2)
	v_fma_f64 v[4:5], v[4:5], v[6:7], v[4:5]
	v_fma_f64 v[2:3], v[2:3], v[6:7], v[2:3]
	v_fma_f64 v[6:7], -v[4:5], v[4:5], v[0:1]
	s_delay_alu instid0(VALU_DEP_1) | instskip(NEXT) | instid1(VALU_DEP_1)
	v_fma_f64 v[4:5], v[6:7], v[2:3], v[4:5]
	v_fma_f64 v[6:7], -v[4:5], v[4:5], v[0:1]
	s_delay_alu instid0(VALU_DEP_1) | instskip(SKIP_2) | instid1(VALU_DEP_2)
	v_fma_f64 v[2:3], v[6:7], v[2:3], v[4:5]
	v_cndmask_b32_e64 v4, 0, 0xffffff80, vcc_lo
	v_cmp_class_f64_e64 vcc_lo, v[0:1], 0x260
                                        ; implicit-def: $vgpr6_vgpr7
	v_ldexp_f64 v[2:3], v[2:3], v4
	s_delay_alu instid0(VALU_DEP_1) | instskip(SKIP_1) | instid1(SALU_CYCLE_1)
	v_dual_cndmask_b32 v35, v3, v1 :: v_dual_cndmask_b32 v34, v2, v0
                                        ; implicit-def: $vgpr0_vgpr1
	s_and_saveexec_b32 s1, s0
	s_xor_b32 s0, exec_lo, s1
	s_cbranch_execz .LBB0_13
; %bb.12:
	s_mov_b32 s3, 0xbfbe19cf
	s_mov_b32 s2, 0x34ee1a66
	;; [unrolled: 1-line block ×3, first 2 shown]
	v_add_f64 v[0:1], v[10:11], s[2:3]
	s_mov_b32 s3, 0x3fbe19cf
	s_mov_b32 s4, 0x74e7187a
	;; [unrolled: 1-line block ×6, first 2 shown]
	s_delay_alu instid0(VALU_DEP_1) | instskip(NEXT) | instid1(VALU_DEP_1)
	v_div_scale_f64 v[2:3], null, v[0:1], v[0:1], s[2:3]
	v_rcp_f64_e32 v[4:5], v[2:3]
	s_waitcnt_depctr 0xfff
	v_fma_f64 v[6:7], -v[2:3], v[4:5], 1.0
	s_delay_alu instid0(VALU_DEP_1) | instskip(NEXT) | instid1(VALU_DEP_1)
	v_fma_f64 v[4:5], v[4:5], v[6:7], v[4:5]
	v_fma_f64 v[6:7], -v[2:3], v[4:5], 1.0
	s_delay_alu instid0(VALU_DEP_1) | instskip(SKIP_1) | instid1(VALU_DEP_1)
	v_fma_f64 v[4:5], v[4:5], v[6:7], v[4:5]
	v_div_scale_f64 v[6:7], vcc_lo, s[2:3], v[0:1], s[2:3]
	v_mul_f64 v[14:15], v[6:7], v[4:5]
	s_delay_alu instid0(VALU_DEP_1) | instskip(NEXT) | instid1(VALU_DEP_1)
	v_fma_f64 v[2:3], -v[2:3], v[14:15], v[6:7]
	v_div_fmas_f64 v[2:3], v[2:3], v[4:5], v[14:15]
	s_delay_alu instid0(VALU_DEP_1) | instskip(SKIP_2) | instid1(SALU_CYCLE_1)
	v_div_fixup_f64 v[0:1], v[2:3], v[0:1], s[2:3]
	s_mov_b32 s3, 0xbff13167
	s_mov_b32 s2, 0xefcf0c01
	v_add_f64 v[2:3], v[10:11], s[2:3]
	s_mov_b32 s3, 0x3ff13167
	s_delay_alu instid0(VALU_DEP_1) | instid1(SALU_CYCLE_1)
	v_div_scale_f64 v[4:5], null, v[2:3], v[2:3], s[2:3]
	s_delay_alu instid0(VALU_DEP_1) | instskip(SKIP_2) | instid1(VALU_DEP_1)
	v_rcp_f64_e32 v[6:7], v[4:5]
	s_waitcnt_depctr 0xfff
	v_fma_f64 v[14:15], -v[4:5], v[6:7], 1.0
	v_fma_f64 v[6:7], v[6:7], v[14:15], v[6:7]
	s_delay_alu instid0(VALU_DEP_1) | instskip(NEXT) | instid1(VALU_DEP_1)
	v_fma_f64 v[14:15], -v[4:5], v[6:7], 1.0
	v_fma_f64 v[6:7], v[6:7], v[14:15], v[6:7]
	v_div_scale_f64 v[14:15], vcc_lo, s[2:3], v[2:3], s[2:3]
	s_delay_alu instid0(VALU_DEP_1) | instskip(NEXT) | instid1(VALU_DEP_1)
	v_mul_f64 v[26:27], v[14:15], v[6:7]
	v_fma_f64 v[4:5], -v[4:5], v[26:27], v[14:15]
	s_delay_alu instid0(VALU_DEP_1) | instskip(NEXT) | instid1(VALU_DEP_1)
	v_div_fmas_f64 v[4:5], v[4:5], v[6:7], v[26:27]
	v_div_fixup_f64 v[2:3], v[4:5], v[2:3], s[2:3]
	s_mov_b32 s3, 0xc008afff
	s_mov_b32 s2, 0xf872263f
	s_delay_alu instid0(SALU_CYCLE_1)
	v_add_f64 v[4:5], v[10:11], s[2:3]
	s_mov_b32 s3, 0x4008afff
	s_delay_alu instid0(VALU_DEP_1) | instid1(SALU_CYCLE_1)
	v_div_scale_f64 v[6:7], null, v[4:5], v[4:5], s[2:3]
	s_delay_alu instid0(VALU_DEP_1) | instskip(SKIP_2) | instid1(VALU_DEP_1)
	v_rcp_f64_e32 v[14:15], v[6:7]
	s_waitcnt_depctr 0xfff
	v_fma_f64 v[26:27], -v[6:7], v[14:15], 1.0
	v_fma_f64 v[14:15], v[14:15], v[26:27], v[14:15]
	s_delay_alu instid0(VALU_DEP_1) | instskip(NEXT) | instid1(VALU_DEP_1)
	v_fma_f64 v[26:27], -v[6:7], v[14:15], 1.0
	v_fma_f64 v[14:15], v[14:15], v[26:27], v[14:15]
	v_div_scale_f64 v[26:27], vcc_lo, s[2:3], v[4:5], s[2:3]
	s_delay_alu instid0(VALU_DEP_1) | instskip(NEXT) | instid1(VALU_DEP_1)
	v_mul_f64 v[48:49], v[26:27], v[14:15]
	v_fma_f64 v[6:7], -v[6:7], v[48:49], v[26:27]
	s_delay_alu instid0(VALU_DEP_1) | instskip(NEXT) | instid1(VALU_DEP_1)
	v_div_fmas_f64 v[6:7], v[6:7], v[14:15], v[48:49]
	v_div_fixup_f64 v[4:5], v[6:7], v[4:5], s[2:3]
	s_mov_b32 s3, 0xc019a8ae
	s_mov_b32 s2, 0xe94b0762
	s_delay_alu instid0(SALU_CYCLE_1)
	;; [unrolled: 22-line block ×3, first 2 shown]
	v_add_f64 v[10:11], v[10:11], s[2:3]
	s_mov_b32 s3, 0x40279d47
	s_delay_alu instid0(VALU_DEP_1) | instid1(SALU_CYCLE_1)
	v_div_scale_f64 v[14:15], null, v[10:11], v[10:11], s[2:3]
	s_delay_alu instid0(VALU_DEP_1) | instskip(SKIP_2) | instid1(VALU_DEP_1)
	v_rcp_f64_e32 v[26:27], v[14:15]
	s_waitcnt_depctr 0xfff
	v_fma_f64 v[48:49], -v[14:15], v[26:27], 1.0
	v_fma_f64 v[26:27], v[26:27], v[48:49], v[26:27]
	s_delay_alu instid0(VALU_DEP_1) | instskip(NEXT) | instid1(VALU_DEP_1)
	v_fma_f64 v[48:49], -v[14:15], v[26:27], 1.0
	v_fma_f64 v[26:27], v[26:27], v[48:49], v[26:27]
	v_div_scale_f64 v[48:49], vcc_lo, s[2:3], v[10:11], s[2:3]
	s_delay_alu instid0(VALU_DEP_1) | instskip(NEXT) | instid1(VALU_DEP_1)
	v_mul_f64 v[50:51], v[48:49], v[26:27]
	v_fma_f64 v[14:15], -v[14:15], v[50:51], v[48:49]
	v_mul_f64 v[48:49], v[34:35], s[4:5]
	s_mov_b32 s5, 0xbfa391fc
	s_delay_alu instid0(VALU_DEP_2) | instskip(SKIP_4) | instid1(VALU_DEP_3)
	v_div_fmas_f64 v[14:15], v[14:15], v[26:27], v[50:51]
	v_mul_f64 v[50:51], v[34:35], s[6:7]
	s_mov_b32 s7, 0xbf58d728
	v_mul_f64 v[26:27], v[34:35], s[8:9]
	s_mov_b32 s9, 0xbee21487
	v_div_fixup_f64 v[14:15], v[14:15], v[10:11], s[2:3]
	s_mov_b32 s3, 0x3fd15787
	s_mov_b32 s2, 0xacb87a1d
	s_delay_alu instid0(SALU_CYCLE_1) | instskip(SKIP_1) | instid1(SALU_CYCLE_1)
	v_mul_f64 v[54:55], v[34:35], s[2:3]
	s_mov_b32 s3, 0xbfd15787
	v_fma_f64 v[10:11], v[34:35], s[2:3], v[34:35]
	s_delay_alu instid0(VALU_DEP_1) | instskip(NEXT) | instid1(VALU_DEP_1)
	v_fma_f64 v[10:11], v[34:35], s[4:5], v[10:11]
	v_fma_f64 v[10:11], v[34:35], s[6:7], v[10:11]
	s_delay_alu instid0(VALU_DEP_1)
	v_fma_f64 v[52:53], v[34:35], s[8:9], v[10:11]
                                        ; implicit-def: $vgpr10_vgpr11
                                        ; implicit-def: $vgpr34_vgpr35
.LBB0_13:
	s_and_not1_saveexec_b32 s50, s0
	s_cbranch_execz .LBB0_15
; %bb.14:
	v_cmp_eq_f64_e32 vcc_lo, 1.0, v[10:11]
	v_frexp_mant_f64_e32 v[2:3], v[10:11]
	v_mov_b32_e32 v0, 0x3ff00000
	s_mov_b32 s1, 0x3fe55555
	s_mov_b32 s0, 0x55555555
	v_frexp_exp_i32_f64_e32 v6, v[10:11]
	s_mov_b32 s2, 0x968915a9
	s_mov_b32 s4, 0x4222de17
	;; [unrolled: 1-line block ×26, first 2 shown]
	v_readlane_b32 s10, v187, 2
	v_readlane_b32 s11, v187, 3
	v_dual_cndmask_b32 v1, 0x40080000, v0 :: v_dual_mov_b32 v0, 0
	v_cmp_gt_f64_e32 vcc_lo, s[0:1], v[2:3]
	s_delay_alu instid0(VALU_DEP_2) | instskip(SKIP_2) | instid1(VALU_DEP_2)
	v_mov_b32_e32 v4, v0
	v_cndmask_b32_e64 v5, 0x3ff00000, 2.0, vcc_lo
	v_subrev_co_ci_u32_e32 v52, vcc_lo, 0, v6, vcc_lo
	v_mul_f64 v[2:3], v[2:3], v[4:5]
	s_delay_alu instid0(VALU_DEP_1) | instskip(SKIP_1) | instid1(VALU_DEP_2)
	v_add_f64 v[6:7], v[2:3], 1.0
	v_add_f64 v[4:5], v[2:3], -1.0
	v_add_f64 v[14:15], v[6:7], -1.0
	s_delay_alu instid0(VALU_DEP_1) | instskip(SKIP_3) | instid1(VALU_DEP_1)
	v_add_f64 v[2:3], v[2:3], -v[14:15]
	v_rcp_f64_e32 v[14:15], v[6:7]
	s_waitcnt_depctr 0xfff
	v_fma_f64 v[26:27], -v[6:7], v[14:15], 1.0
	v_fma_f64 v[14:15], v[26:27], v[14:15], v[14:15]
	s_delay_alu instid0(VALU_DEP_1) | instskip(NEXT) | instid1(VALU_DEP_1)
	v_fma_f64 v[26:27], -v[6:7], v[14:15], 1.0
	v_fma_f64 v[14:15], v[26:27], v[14:15], v[14:15]
	s_delay_alu instid0(VALU_DEP_1) | instskip(NEXT) | instid1(VALU_DEP_1)
	v_mul_f64 v[26:27], v[4:5], v[14:15]
	v_mul_f64 v[48:49], v[6:7], v[26:27]
	s_delay_alu instid0(VALU_DEP_1) | instskip(NEXT) | instid1(VALU_DEP_1)
	v_fma_f64 v[6:7], v[26:27], v[6:7], -v[48:49]
	v_fma_f64 v[2:3], v[26:27], v[2:3], v[6:7]
	s_delay_alu instid0(VALU_DEP_1) | instskip(NEXT) | instid1(VALU_DEP_1)
	v_add_f64 v[6:7], v[48:49], v[2:3]
	v_add_f64 v[50:51], v[4:5], -v[6:7]
	v_add_f64 v[48:49], v[6:7], -v[48:49]
	s_delay_alu instid0(VALU_DEP_2) | instskip(NEXT) | instid1(VALU_DEP_2)
	v_add_f64 v[4:5], v[4:5], -v[50:51]
	v_add_f64 v[2:3], v[48:49], -v[2:3]
	v_cvt_f64_i32_e32 v[48:49], v52
	s_delay_alu instid0(VALU_DEP_3) | instskip(NEXT) | instid1(VALU_DEP_1)
	v_add_f64 v[4:5], v[4:5], -v[6:7]
	v_add_f64 v[2:3], v[2:3], v[4:5]
	s_delay_alu instid0(VALU_DEP_1) | instskip(NEXT) | instid1(VALU_DEP_1)
	v_add_f64 v[2:3], v[50:51], v[2:3]
	v_mul_f64 v[2:3], v[14:15], v[2:3]
	s_delay_alu instid0(VALU_DEP_1) | instskip(NEXT) | instid1(VALU_DEP_1)
	v_add_f64 v[4:5], v[26:27], v[2:3]
	v_add_f64 v[6:7], v[4:5], -v[26:27]
	s_delay_alu instid0(VALU_DEP_1) | instskip(SKIP_1) | instid1(VALU_DEP_2)
	v_add_f64 v[2:3], v[2:3], -v[6:7]
	v_mul_f64 v[6:7], v[4:5], v[4:5]
	v_add_f64 v[26:27], v[2:3], v[2:3]
	s_delay_alu instid0(VALU_DEP_2) | instskip(SKIP_1) | instid1(VALU_DEP_2)
	v_fma_f64 v[14:15], v[4:5], v[4:5], -v[6:7]
	v_ldexp_f64 v[54:55], v[2:3], 1
	v_fma_f64 v[14:15], v[4:5], v[26:27], v[14:15]
	s_delay_alu instid0(VALU_DEP_1) | instskip(NEXT) | instid1(VALU_DEP_1)
	v_add_f64 v[26:27], v[6:7], v[14:15]
	v_add_f64 v[6:7], v[26:27], -v[6:7]
	v_mul_f64 v[113:114], v[4:5], v[26:27]
	s_delay_alu instid0(VALU_DEP_2)
	v_add_f64 v[6:7], v[14:15], -v[6:7]
	v_fma_f64 v[14:15], v[26:27], s[4:5], s[2:3]
	s_mov_b32 s2, 0x3abe935a
	s_mov_b32 s3, 0x3fbe25e4
	;; [unrolled: 1-line block ×4, first 2 shown]
	s_delay_alu instid0(VALU_DEP_3) | instskip(NEXT) | instid1(VALU_DEP_2)
	v_fma_f64 v[115:116], v[26:27], v[4:5], -v[113:114]
	v_fma_f64 v[14:15], v[26:27], v[14:15], s[2:3]
	s_mov_b32 s2, 0x47e6c9c2
	s_mov_b32 s3, 0x3fc110ef
	s_delay_alu instid0(VALU_DEP_2) | instskip(NEXT) | instid1(VALU_DEP_2)
	v_fma_f64 v[2:3], v[26:27], v[2:3], v[115:116]
	v_fma_f64 v[14:15], v[26:27], v[14:15], s[2:3]
	s_mov_b32 s2, 0xcfa74449
	s_mov_b32 s3, 0x3fc3b13b
	s_delay_alu instid0(VALU_DEP_2) | instskip(NEXT) | instid1(VALU_DEP_2)
	v_fma_f64 v[2:3], v[6:7], v[4:5], v[2:3]
	v_fma_f64 v[14:15], v[26:27], v[14:15], s[2:3]
	s_mov_b32 s2, 0x71bf3c30
	s_mov_b32 s3, 0x3fc745d1
	s_delay_alu instid0(VALU_DEP_1) | instid1(SALU_CYCLE_1)
	v_fma_f64 v[14:15], v[26:27], v[14:15], s[2:3]
	s_mov_b32 s2, 0x1c7792ce
	s_mov_b32 s3, 0x3fcc71c7
	s_delay_alu instid0(VALU_DEP_1) | instid1(SALU_CYCLE_1)
	;; [unrolled: 4-line block ×4, first 2 shown]
	v_fma_f64 v[14:15], v[26:27], v[14:15], s[2:3]
	s_mov_b32 s3, 0x3fe62e42
	s_mov_b32 s2, 0xfefa39ef
	s_delay_alu instid0(SALU_CYCLE_1) | instskip(NEXT) | instid1(VALU_DEP_1)
	v_mul_f64 v[50:51], v[48:49], s[2:3]
	v_fma_f64 v[52:53], v[48:49], s[2:3], -v[50:51]
	s_mov_b32 s3, 0xbfe62e42
	s_delay_alu instid0(VALU_DEP_1) | instskip(SKIP_1) | instid1(VALU_DEP_1)
	v_fma_f64 v[48:49], v[48:49], s[4:5], v[52:53]
	s_mov_b32 s5, 0xbc7abc9e
	v_add_f64 v[52:53], v[50:51], v[48:49]
	s_delay_alu instid0(VALU_DEP_1) | instskip(NEXT) | instid1(VALU_DEP_1)
	v_add_f64 v[50:51], v[52:53], -v[50:51]
	v_add_f64 v[48:49], v[48:49], -v[50:51]
	v_ldexp_f64 v[50:51], v[4:5], 1
	v_add_f64 v[4:5], v[113:114], v[2:3]
	s_delay_alu instid0(VALU_DEP_1) | instskip(NEXT) | instid1(VALU_DEP_1)
	v_add_f64 v[113:114], v[4:5], -v[113:114]
	v_add_f64 v[2:3], v[2:3], -v[113:114]
	v_mul_f64 v[113:114], v[26:27], v[14:15]
	s_delay_alu instid0(VALU_DEP_1) | instskip(NEXT) | instid1(VALU_DEP_1)
	v_fma_f64 v[26:27], v[26:27], v[14:15], -v[113:114]
	v_fma_f64 v[6:7], v[6:7], v[14:15], v[26:27]
	s_delay_alu instid0(VALU_DEP_1) | instskip(NEXT) | instid1(VALU_DEP_1)
	v_add_f64 v[14:15], v[113:114], v[6:7]
	v_add_f64 v[26:27], v[14:15], -v[113:114]
	s_delay_alu instid0(VALU_DEP_1)
	v_add_f64 v[6:7], v[6:7], -v[26:27]
	v_add_f64 v[26:27], v[14:15], s[0:1]
	s_mov_b32 s1, 0xbfe55555
	s_delay_alu instid0(VALU_DEP_1) | instid1(SALU_CYCLE_1)
	v_add_f64 v[113:114], v[26:27], s[0:1]
	s_mov_b32 s0, 0xd5df274d
	s_mov_b32 s1, 0x3c8543b0
	s_delay_alu instid0(VALU_DEP_3) | instid1(SALU_CYCLE_1)
	v_add_f64 v[6:7], v[6:7], s[0:1]
	s_delay_alu instid0(VALU_DEP_2) | instskip(NEXT) | instid1(VALU_DEP_1)
	v_add_f64 v[14:15], v[14:15], -v[113:114]
	v_add_f64 v[6:7], v[6:7], v[14:15]
	s_delay_alu instid0(VALU_DEP_1) | instskip(NEXT) | instid1(VALU_DEP_1)
	v_add_f64 v[14:15], v[26:27], v[6:7]
	v_add_f64 v[26:27], v[26:27], -v[14:15]
	s_delay_alu instid0(VALU_DEP_1) | instskip(SKIP_1) | instid1(VALU_DEP_1)
	v_add_f64 v[6:7], v[6:7], v[26:27]
	v_mul_f64 v[26:27], v[4:5], v[14:15]
	v_fma_f64 v[113:114], v[4:5], v[14:15], -v[26:27]
	s_delay_alu instid0(VALU_DEP_1) | instskip(NEXT) | instid1(VALU_DEP_1)
	v_fma_f64 v[4:5], v[4:5], v[6:7], v[113:114]
	v_fma_f64 v[2:3], v[2:3], v[14:15], v[4:5]
	s_delay_alu instid0(VALU_DEP_1) | instskip(NEXT) | instid1(VALU_DEP_1)
	v_add_f64 v[4:5], v[26:27], v[2:3]
	v_add_f64 v[6:7], v[4:5], -v[26:27]
	s_delay_alu instid0(VALU_DEP_1) | instskip(SKIP_1) | instid1(VALU_DEP_2)
	v_add_f64 v[2:3], v[2:3], -v[6:7]
	v_add_f64 v[6:7], v[50:51], v[4:5]
	v_add_f64 v[2:3], v[54:55], v[2:3]
	s_delay_alu instid0(VALU_DEP_2) | instskip(NEXT) | instid1(VALU_DEP_1)
	v_add_f64 v[14:15], v[6:7], -v[50:51]
	v_add_f64 v[4:5], v[4:5], -v[14:15]
	s_delay_alu instid0(VALU_DEP_1) | instskip(NEXT) | instid1(VALU_DEP_1)
	v_add_f64 v[2:3], v[2:3], v[4:5]
	v_add_f64 v[4:5], v[6:7], v[2:3]
	s_delay_alu instid0(VALU_DEP_1) | instskip(NEXT) | instid1(VALU_DEP_1)
	v_add_f64 v[6:7], v[4:5], -v[6:7]
	v_add_f64 v[2:3], v[2:3], -v[6:7]
	v_add_f64 v[6:7], v[52:53], v[4:5]
	s_delay_alu instid0(VALU_DEP_1) | instskip(NEXT) | instid1(VALU_DEP_1)
	v_add_f64 v[14:15], v[6:7], -v[52:53]
	v_add_f64 v[26:27], v[6:7], -v[14:15]
	;; [unrolled: 1-line block ×3, first 2 shown]
	v_add_f64 v[14:15], v[48:49], v[2:3]
	s_delay_alu instid0(VALU_DEP_3) | instskip(NEXT) | instid1(VALU_DEP_1)
	v_add_f64 v[26:27], v[52:53], -v[26:27]
	v_add_f64 v[4:5], v[4:5], v[26:27]
	s_delay_alu instid0(VALU_DEP_3) | instskip(NEXT) | instid1(VALU_DEP_2)
	v_add_f64 v[26:27], v[14:15], -v[48:49]
	v_add_f64 v[4:5], v[14:15], v[4:5]
	s_delay_alu instid0(VALU_DEP_2) | instskip(SKIP_1) | instid1(VALU_DEP_3)
	v_add_f64 v[50:51], v[14:15], -v[26:27]
	v_add_f64 v[2:3], v[2:3], -v[26:27]
	v_add_f64 v[14:15], v[6:7], v[4:5]
	s_delay_alu instid0(VALU_DEP_3) | instskip(NEXT) | instid1(VALU_DEP_2)
	v_add_f64 v[48:49], v[48:49], -v[50:51]
	v_add_f64 v[6:7], v[14:15], -v[6:7]
	s_delay_alu instid0(VALU_DEP_2) | instskip(NEXT) | instid1(VALU_DEP_2)
	v_add_f64 v[2:3], v[2:3], v[48:49]
	v_add_f64 v[4:5], v[4:5], -v[6:7]
	s_delay_alu instid0(VALU_DEP_1) | instskip(NEXT) | instid1(VALU_DEP_1)
	v_add_f64 v[2:3], v[2:3], v[4:5]
	v_add_f64 v[4:5], v[14:15], v[2:3]
	s_delay_alu instid0(VALU_DEP_1) | instskip(NEXT) | instid1(VALU_DEP_1)
	v_add_f64 v[6:7], v[4:5], -v[14:15]
	v_add_f64 v[2:3], v[2:3], -v[6:7]
	v_mul_f64 v[6:7], v[0:1], v[4:5]
	s_delay_alu instid0(VALU_DEP_1) | instskip(SKIP_1) | instid1(VALU_DEP_2)
	v_fma_f64 v[4:5], v[0:1], v[4:5], -v[6:7]
	v_cmp_class_f64_e64 vcc_lo, v[6:7], 0x204
	v_fma_f64 v[0:1], v[0:1], v[2:3], v[4:5]
	s_delay_alu instid0(VALU_DEP_1) | instskip(NEXT) | instid1(VALU_DEP_1)
	v_add_f64 v[2:3], v[6:7], v[0:1]
	v_add_f64 v[4:5], v[2:3], -v[6:7]
	v_dual_cndmask_b32 v3, v3, v7 :: v_dual_cndmask_b32 v2, v2, v6
	s_delay_alu instid0(VALU_DEP_1) | instskip(NEXT) | instid1(VALU_DEP_3)
	v_cmp_neq_f64_e64 vcc_lo, 0x7ff00000, |v[2:3]|
	v_add_f64 v[0:1], v[0:1], -v[4:5]
	v_mul_f64 v[4:5], v[2:3], s[26:27]
	s_mov_b32 s27, 0xbff71547
	s_delay_alu instid0(VALU_DEP_2) | instskip(NEXT) | instid1(VALU_DEP_2)
	v_cndmask_b32_e32 v1, 0, v1, vcc_lo
	v_rndne_f64_e32 v[4:5], v[4:5]
	s_delay_alu instid0(VALU_DEP_4) | instskip(SKIP_1) | instid1(VALU_DEP_3)
	v_cndmask_b32_e32 v0, 0, v0, vcc_lo
	v_cmp_lt_f64_e32 vcc_lo, 0x40900000, v[2:3]
	v_fma_f64 v[6:7], v[4:5], s[2:3], v[2:3]
	s_delay_alu instid0(VALU_DEP_1) | instskip(SKIP_1) | instid1(VALU_DEP_2)
	v_fma_f64 v[6:7], v[4:5], s[4:5], v[6:7]
	v_cvt_i32_f64_e32 v4, v[4:5]
	v_fma_f64 v[14:15], v[6:7], s[24:25], s[20:21]
	s_delay_alu instid0(VALU_DEP_1) | instskip(NEXT) | instid1(VALU_DEP_1)
	v_fma_f64 v[14:15], v[6:7], v[14:15], s[22:23]
	v_fma_f64 v[14:15], v[6:7], v[14:15], s[18:19]
	s_delay_alu instid0(VALU_DEP_1) | instskip(NEXT) | instid1(VALU_DEP_1)
	v_fma_f64 v[14:15], v[6:7], v[14:15], s[16:17]
	;; [unrolled: 3-line block ×4, first 2 shown]
	v_fma_f64 v[14:15], v[6:7], v[14:15], s[12:13]
	s_delay_alu instid0(VALU_DEP_1) | instskip(NEXT) | instid1(VALU_DEP_1)
	v_fma_f64 v[14:15], v[6:7], v[14:15], 1.0
	v_fma_f64 v[6:7], v[6:7], v[14:15], 1.0
	s_delay_alu instid0(VALU_DEP_1) | instskip(NEXT) | instid1(VALU_DEP_1)
	v_ldexp_f64 v[4:5], v[6:7], v4
	v_cndmask_b32_e64 v7, v5, 0x7ff00000, vcc_lo
	v_and_b32_e32 v5, 0x7fffffff, v5
	v_cmp_ngt_f64_e64 s0, 0xc090cc00, v[2:3]
	s_delay_alu instid0(VALU_DEP_4) | instskip(NEXT) | instid1(VALU_DEP_3)
	v_cndmask_b32_e64 v6, v4, 0, vcc_lo
	v_cmp_eq_f64_e64 s1, 0x7ff00000, v[4:5]
	s_delay_alu instid0(VALU_DEP_3) | instskip(NEXT) | instid1(VALU_DEP_3)
	v_cndmask_b32_e64 v3, 0, v7, s0
	v_cndmask_b32_e64 v2, 0, v6, s0
	s_delay_alu instid0(VALU_DEP_3) | instskip(NEXT) | instid1(VALU_DEP_1)
	s_or_b32 s1, vcc_lo, s1
	v_fma_f64 v[0:1], v[2:3], v[0:1], v[2:3]
	s_and_b32 vcc_lo, s0, s1
	s_mov_b32 s0, 0x3eaa0c05
	s_mov_b32 s1, 0x40009589
	s_delay_alu instid0(VALU_DEP_1) | instskip(SKIP_3) | instid1(VALU_DEP_2)
	v_dual_cndmask_b32 v27, v1, v3 :: v_dual_cndmask_b32 v26, v0, v2
	v_mul_f64 v[0:1], v[10:11], s[26:27]
	v_cmp_nlt_f64_e32 vcc_lo, 0x4090cc00, v[10:11]
	s_mov_b64 s[26:27], s[44:45]
	v_rndne_f64_e32 v[0:1], v[0:1]
	s_delay_alu instid0(VALU_DEP_1) | instskip(SKIP_2) | instid1(VALU_DEP_1)
	v_fma_f64 v[2:3], v[0:1], s[2:3], -v[10:11]
	s_mov_b32 s2, 0xcaeb734b
	s_mov_b32 s3, 0xbf98f5fb
	v_fma_f64 v[2:3], v[0:1], s[4:5], v[2:3]
	v_cvt_i32_f64_e32 v0, v[0:1]
	s_delay_alu instid0(VALU_DEP_2) | instskip(SKIP_2) | instid1(VALU_DEP_3)
	v_fma_f64 v[4:5], v[2:3], s[24:25], s[20:21]
	v_readlane_b32 s24, v187, 0
	v_readlane_b32 s25, v187, 1
	v_fma_f64 v[4:5], v[2:3], v[4:5], s[22:23]
	s_mov_b64 s[22:23], s[40:41]
	s_delay_alu instid0(VALU_DEP_1) | instskip(NEXT) | instid1(VALU_DEP_1)
	v_fma_f64 v[4:5], v[2:3], v[4:5], s[18:19]
	v_fma_f64 v[4:5], v[2:3], v[4:5], s[16:17]
	s_delay_alu instid0(VALU_DEP_1) | instskip(NEXT) | instid1(VALU_DEP_1)
	v_fma_f64 v[4:5], v[2:3], v[4:5], s[52:53]
	v_fma_f64 v[4:5], v[2:3], v[4:5], s[36:37]
	;; [unrolled: 3-line block ×3, first 2 shown]
	s_delay_alu instid0(VALU_DEP_1) | instskip(NEXT) | instid1(VALU_DEP_1)
	v_fma_f64 v[4:5], v[2:3], v[4:5], s[12:13]
	v_fma_f64 v[4:5], v[2:3], v[4:5], 1.0
	s_delay_alu instid0(VALU_DEP_1) | instskip(NEXT) | instid1(VALU_DEP_1)
	v_fma_f64 v[2:3], v[2:3], v[4:5], 1.0
	v_ldexp_f64 v[0:1], v[2:3], v0
	s_delay_alu instid0(VALU_DEP_1) | instskip(NEXT) | instid1(VALU_DEP_1)
	v_dual_cndmask_b32 v1, 0, v1 :: v_dual_cndmask_b32 v0, 0, v0
	v_mul_f64 v[48:49], v[0:1], |v[26:27]|
	v_fma_f64 v[0:1], v[10:11], s[2:3], s[0:1]
	s_mov_b32 s0, 0xc96ff243
	s_mov_b32 s1, 0xc050262b
	s_mov_b32 s2, 0x3ae66c31
	s_mov_b32 s3, 0xbfcd4b59
	s_delay_alu instid0(VALU_DEP_1)
	v_fma_f64 v[0:1], v[10:11], v[0:1], s[0:1]
	s_mov_b32 s0, 0xdc8f9da2
	s_mov_b32 s1, 0x40865147
	s_delay_alu instid0(VALU_DEP_1) | instid1(SALU_CYCLE_1)
	v_fma_f64 v[0:1], v[10:11], v[0:1], s[0:1]
	s_mov_b32 s1, 0xbfbe19cf
	s_mov_b32 s0, 0x34ee1a66
	s_delay_alu instid0(SALU_CYCLE_1)
	v_add_f64 v[2:3], v[10:11], s[0:1]
	s_mov_b32 s1, 0x3fbe19cf
	s_delay_alu instid0(VALU_DEP_1) | instid1(SALU_CYCLE_1)
	v_div_scale_f64 v[4:5], null, v[2:3], v[2:3], s[0:1]
	s_delay_alu instid0(VALU_DEP_1) | instskip(SKIP_2) | instid1(VALU_DEP_1)
	v_rcp_f64_e32 v[6:7], v[4:5]
	s_waitcnt_depctr 0xfff
	v_fma_f64 v[14:15], -v[4:5], v[6:7], 1.0
	v_fma_f64 v[6:7], v[6:7], v[14:15], v[6:7]
	s_delay_alu instid0(VALU_DEP_1) | instskip(NEXT) | instid1(VALU_DEP_1)
	v_fma_f64 v[14:15], -v[4:5], v[6:7], 1.0
	v_fma_f64 v[6:7], v[6:7], v[14:15], v[6:7]
	v_div_scale_f64 v[14:15], vcc_lo, s[0:1], v[2:3], s[0:1]
	s_delay_alu instid0(VALU_DEP_1) | instskip(NEXT) | instid1(VALU_DEP_1)
	v_mul_f64 v[50:51], v[14:15], v[6:7]
	v_fma_f64 v[4:5], -v[4:5], v[50:51], v[14:15]
	s_delay_alu instid0(VALU_DEP_1) | instskip(NEXT) | instid1(VALU_DEP_1)
	v_div_fmas_f64 v[4:5], v[4:5], v[6:7], v[50:51]
	v_div_fixup_f64 v[2:3], v[4:5], v[2:3], s[0:1]
	s_mov_b32 s0, 0x2077fa57
	s_mov_b32 s1, 0x403351af
	s_delay_alu instid0(VALU_DEP_1)
	v_fma_f64 v[0:1], v[0:1], v[48:49], v[2:3]
	v_fma_f64 v[2:3], v[10:11], s[2:3], s[0:1]
	s_mov_b32 s0, 0xa5d22b7d
	s_mov_b32 s1, 0xc082be32
	s_mov_b32 s2, 0xdf16f1a0
	s_mov_b32 s3, 0xbfe63ddf
	s_delay_alu instid0(VALU_DEP_1)
	v_fma_f64 v[2:3], v[10:11], v[2:3], s[0:1]
	s_mov_b32 s0, 0x102c9863
	s_mov_b32 s1, 0x40b9da71
	s_delay_alu instid0(VALU_DEP_1) | instid1(SALU_CYCLE_1)
	v_fma_f64 v[2:3], v[10:11], v[2:3], s[0:1]
	s_mov_b32 s1, 0xbff13167
	s_mov_b32 s0, 0xefcf0c01
	s_delay_alu instid0(SALU_CYCLE_1)
	v_add_f64 v[4:5], v[10:11], s[0:1]
	s_mov_b32 s1, 0x3ff13167
	s_delay_alu instid0(VALU_DEP_1) | instid1(SALU_CYCLE_1)
	v_div_scale_f64 v[6:7], null, v[4:5], v[4:5], s[0:1]
	s_delay_alu instid0(VALU_DEP_1) | instskip(SKIP_2) | instid1(VALU_DEP_1)
	v_rcp_f64_e32 v[14:15], v[6:7]
	s_waitcnt_depctr 0xfff
	v_fma_f64 v[50:51], -v[6:7], v[14:15], 1.0
	v_fma_f64 v[14:15], v[14:15], v[50:51], v[14:15]
	s_delay_alu instid0(VALU_DEP_1) | instskip(NEXT) | instid1(VALU_DEP_1)
	v_fma_f64 v[50:51], -v[6:7], v[14:15], 1.0
	v_fma_f64 v[14:15], v[14:15], v[50:51], v[14:15]
	v_div_scale_f64 v[50:51], vcc_lo, s[0:1], v[4:5], s[0:1]
	s_delay_alu instid0(VALU_DEP_1) | instskip(NEXT) | instid1(VALU_DEP_1)
	v_mul_f64 v[52:53], v[50:51], v[14:15]
	v_fma_f64 v[6:7], -v[6:7], v[52:53], v[50:51]
	s_delay_alu instid0(VALU_DEP_1) | instskip(NEXT) | instid1(VALU_DEP_1)
	v_div_fmas_f64 v[6:7], v[6:7], v[14:15], v[52:53]
	v_div_fixup_f64 v[4:5], v[6:7], v[4:5], s[0:1]
	s_mov_b32 s0, 0x4e6da19
	s_mov_b32 s1, 0x404cd7fd
	s_delay_alu instid0(VALU_DEP_1)
	v_fma_f64 v[2:3], v[2:3], v[48:49], v[4:5]
	;; [unrolled: 37-line block ×4, first 2 shown]
	v_fma_f64 v[14:15], v[10:11], s[2:3], s[0:1]
	s_mov_b32 s0, 0x7e24ae4
	s_mov_b32 s1, 0xc0bd9949
	;; [unrolled: 1-line block ×4, first 2 shown]
	s_delay_alu instid0(VALU_DEP_1)
	v_fma_f64 v[14:15], v[10:11], v[14:15], s[0:1]
	s_mov_b32 s0, 0xe813dd3e
	s_mov_b32 s1, 0x40f4114a
	s_delay_alu instid0(VALU_DEP_1) | instid1(SALU_CYCLE_1)
	v_fma_f64 v[14:15], v[10:11], v[14:15], s[0:1]
	s_mov_b32 s1, 0xc0279d47
	s_mov_b32 s0, 0xf0da34ed
	s_delay_alu instid0(SALU_CYCLE_1)
	v_add_f64 v[50:51], v[10:11], s[0:1]
	s_mov_b32 s1, 0x40279d47
	s_delay_alu instid0(VALU_DEP_1) | instid1(SALU_CYCLE_1)
	v_div_scale_f64 v[52:53], null, v[50:51], v[50:51], s[0:1]
	s_delay_alu instid0(VALU_DEP_1) | instskip(SKIP_2) | instid1(VALU_DEP_1)
	v_rcp_f64_e32 v[54:55], v[52:53]
	s_waitcnt_depctr 0xfff
	v_fma_f64 v[113:114], -v[52:53], v[54:55], 1.0
	v_fma_f64 v[54:55], v[54:55], v[113:114], v[54:55]
	s_delay_alu instid0(VALU_DEP_1) | instskip(NEXT) | instid1(VALU_DEP_1)
	v_fma_f64 v[113:114], -v[52:53], v[54:55], 1.0
	v_fma_f64 v[54:55], v[54:55], v[113:114], v[54:55]
	v_div_scale_f64 v[113:114], vcc_lo, s[0:1], v[50:51], s[0:1]
	s_delay_alu instid0(VALU_DEP_1) | instskip(NEXT) | instid1(VALU_DEP_1)
	v_mul_f64 v[115:116], v[113:114], v[54:55]
	v_fma_f64 v[52:53], -v[52:53], v[115:116], v[113:114]
	s_delay_alu instid0(VALU_DEP_1) | instskip(NEXT) | instid1(VALU_DEP_1)
	v_div_fmas_f64 v[52:53], v[52:53], v[54:55], v[115:116]
	v_div_fixup_f64 v[50:51], v[52:53], v[50:51], s[0:1]
	s_mov_b32 s0, 0x79905db7
	s_mov_b32 s1, 0xbe95fe39
	v_mul_f64 v[52:53], |v[26:27]|, v[48:49]
	v_fma_f64 v[26:27], v[10:11], s[2:3], s[0:1]
	s_mov_b32 s0, 0x1af920fa
	s_mov_b32 s1, 0x3ec442a9
	;; [unrolled: 1-line block ×4, first 2 shown]
	s_delay_alu instid0(VALU_DEP_3) | instskip(NEXT) | instid1(VALU_DEP_2)
	v_fma_f64 v[14:15], v[14:15], v[48:49], v[50:51]
	v_fma_f64 v[26:27], v[10:11], v[26:27], s[0:1]
	s_mov_b32 s0, 0x2c35b4c1
	s_mov_b32 s1, 0x3ee21487
	s_delay_alu instid0(VALU_DEP_1) | instskip(NEXT) | instid1(VALU_DEP_1)
	v_mul_f64 v[26:27], v[26:27], v[52:53]
	v_fma_f64 v[26:27], v[34:35], s[0:1], v[26:27]
	s_mov_b32 s0, 0x4f1d383e
	s_mov_b32 s1, 0xbf029fbe
	s_delay_alu instid0(SALU_CYCLE_1) | instskip(SKIP_4) | instid1(VALU_DEP_1)
	v_fma_f64 v[48:49], v[10:11], s[2:3], s[0:1]
	s_mov_b32 s0, 0xc17d817a
	s_mov_b32 s1, 0x3f33e01a
	;; [unrolled: 1-line block ×4, first 2 shown]
	v_fma_f64 v[48:49], v[10:11], v[48:49], s[0:1]
	s_mov_b32 s0, 0xef7a4729
	s_mov_b32 s1, 0x3f58d728
	s_delay_alu instid0(VALU_DEP_1) | instskip(NEXT) | instid1(VALU_DEP_1)
	v_mul_f64 v[48:49], v[48:49], v[52:53]
	v_fma_f64 v[50:51], v[34:35], s[0:1], v[48:49]
	s_mov_b32 s0, 0xd6e11677
	s_mov_b32 s1, 0xbf3b7c31
	s_delay_alu instid0(SALU_CYCLE_1) | instskip(SKIP_4) | instid1(VALU_DEP_1)
	v_fma_f64 v[48:49], v[10:11], s[2:3], s[0:1]
	s_mov_b32 s0, 0x6dfe45c6
	s_mov_b32 s1, 0x3f6fc2cc
	;; [unrolled: 1-line block ×4, first 2 shown]
	v_fma_f64 v[48:49], v[10:11], v[48:49], s[0:1]
	s_mov_b32 s0, 0x74e7187a
	s_mov_b32 s1, 0x3fa391fc
	s_delay_alu instid0(VALU_DEP_1) | instskip(NEXT) | instid1(VALU_DEP_1)
	v_mul_f64 v[48:49], v[48:49], v[52:53]
	v_fma_f64 v[48:49], v[34:35], s[0:1], v[48:49]
	s_mov_b32 s0, 0xdc6129e2
	s_mov_b32 s1, 0xbf468865
	s_delay_alu instid0(SALU_CYCLE_1)
	v_fma_f64 v[54:55], v[10:11], s[2:3], s[0:1]
	s_mov_b32 s0, 0x70387862
	s_mov_b32 s1, 0x3f7b6449
	s_delay_alu instid0(VALU_DEP_1) | instid1(SALU_CYCLE_1)
	v_fma_f64 v[10:11], v[10:11], v[54:55], s[0:1]
	s_mov_b32 s0, 0xacb87a1d
	s_mov_b32 s1, 0x3fd15787
	s_delay_alu instid0(VALU_DEP_1) | instskip(NEXT) | instid1(VALU_DEP_1)
	v_mul_f64 v[10:11], v[10:11], v[52:53]
	v_fma_f64 v[54:55], v[34:35], s[0:1], v[10:11]
	s_delay_alu instid0(VALU_DEP_1) | instskip(NEXT) | instid1(VALU_DEP_1)
	v_add_f64 v[10:11], v[34:35], -v[54:55]
	v_add_f64 v[10:11], v[10:11], -v[48:49]
	s_delay_alu instid0(VALU_DEP_1) | instskip(NEXT) | instid1(VALU_DEP_1)
	v_add_f64 v[10:11], v[10:11], -v[50:51]
	v_add_f64 v[52:53], v[10:11], -v[26:27]
.LBB0_15:
	s_or_b32 exec_lo, exec_lo, s50
                                        ; implicit-def: $vgpr10_vgpr11
.LBB0_16:
	s_and_not1_saveexec_b32 s0, s49
	s_cbranch_execz .LBB0_18
; %bb.17:
	s_mov_b32 s2, 0x54442d15
	s_mov_b32 s3, 0x3fe921fb
	s_mov_b32 s4, 0x6a5dcb37
	v_div_scale_f64 v[0:1], null, v[10:11], v[10:11], s[2:3]
	s_mov_b32 s5, 0x3e5ade15
	s_delay_alu instid0(VALU_DEP_1) | instskip(SKIP_2) | instid1(VALU_DEP_1)
	v_rcp_f64_e32 v[2:3], v[0:1]
	s_waitcnt_depctr 0xfff
	v_fma_f64 v[4:5], -v[0:1], v[2:3], 1.0
	v_fma_f64 v[2:3], v[2:3], v[4:5], v[2:3]
	s_delay_alu instid0(VALU_DEP_1) | instskip(NEXT) | instid1(VALU_DEP_1)
	v_fma_f64 v[4:5], -v[0:1], v[2:3], 1.0
	v_fma_f64 v[2:3], v[2:3], v[4:5], v[2:3]
	v_div_scale_f64 v[4:5], vcc_lo, s[2:3], v[10:11], s[2:3]
	s_delay_alu instid0(VALU_DEP_1) | instskip(NEXT) | instid1(VALU_DEP_1)
	v_mul_f64 v[6:7], v[4:5], v[2:3]
	v_fma_f64 v[0:1], -v[0:1], v[6:7], v[4:5]
	s_delay_alu instid0(VALU_DEP_1) | instskip(NEXT) | instid1(VALU_DEP_1)
	v_div_fmas_f64 v[0:1], v[0:1], v[2:3], v[6:7]
	v_div_fixup_f64 v[0:1], v[0:1], v[10:11], s[2:3]
	s_mov_b32 s2, 0x652b82fe
	s_mov_b32 s3, 0xbff71547
	s_delay_alu instid0(VALU_DEP_1) | instskip(SKIP_1) | instid1(VALU_DEP_1)
	v_cmp_gt_f64_e32 vcc_lo, 0x10000000, v[0:1]
	v_cndmask_b32_e64 v2, 0, 1, vcc_lo
	v_lshlrev_b32_e32 v2, 8, v2
	s_delay_alu instid0(VALU_DEP_1) | instskip(NEXT) | instid1(VALU_DEP_1)
	v_ldexp_f64 v[0:1], v[0:1], v2
	v_rsq_f64_e32 v[2:3], v[0:1]
	s_waitcnt_depctr 0xfff
	v_mul_f64 v[4:5], v[0:1], v[2:3]
	v_mul_f64 v[2:3], v[2:3], 0.5
	s_delay_alu instid0(VALU_DEP_1) | instskip(NEXT) | instid1(VALU_DEP_1)
	v_fma_f64 v[6:7], -v[2:3], v[4:5], 0.5
	v_fma_f64 v[4:5], v[4:5], v[6:7], v[4:5]
	v_fma_f64 v[2:3], v[2:3], v[6:7], v[2:3]
	s_delay_alu instid0(VALU_DEP_2) | instskip(NEXT) | instid1(VALU_DEP_1)
	v_fma_f64 v[14:15], -v[4:5], v[4:5], v[0:1]
	v_fma_f64 v[4:5], v[14:15], v[2:3], v[4:5]
	s_delay_alu instid0(VALU_DEP_1) | instskip(NEXT) | instid1(VALU_DEP_1)
	v_fma_f64 v[6:7], -v[4:5], v[4:5], v[0:1]
	v_fma_f64 v[2:3], v[6:7], v[2:3], v[4:5]
	v_cndmask_b32_e64 v4, 0, 0xffffff80, vcc_lo
	v_cmp_class_f64_e64 vcc_lo, v[0:1], 0x260
	s_delay_alu instid0(VALU_DEP_2) | instskip(NEXT) | instid1(VALU_DEP_1)
	v_ldexp_f64 v[2:3], v[2:3], v4
	v_dual_cndmask_b32 v35, v3, v1 :: v_dual_cndmask_b32 v34, v2, v0
	v_mul_f64 v[0:1], v[10:11], s[2:3]
	s_mov_b32 s2, 0xfefa39ef
	s_mov_b32 s3, 0xbfe62e42
	v_cmp_nlt_f64_e32 vcc_lo, 0x4090cc00, v[10:11]
	s_delay_alu instid0(VALU_DEP_2) | instskip(NEXT) | instid1(VALU_DEP_1)
	v_rndne_f64_e32 v[0:1], v[0:1]
	v_fma_f64 v[2:3], v[0:1], s[2:3], -v[10:11]
	s_mov_b32 s2, 0x3b39803f
	s_mov_b32 s3, 0xbc7abc9e
	s_delay_alu instid0(VALU_DEP_1) | instid1(SALU_CYCLE_1)
	v_fma_f64 v[2:3], v[0:1], s[2:3], v[2:3]
	s_mov_b32 s2, 0xfca7ab0c
	s_mov_b32 s3, 0x3e928af3
	v_cvt_i32_f64_e32 v0, v[0:1]
	s_delay_alu instid0(VALU_DEP_2) | instskip(SKIP_4) | instid1(VALU_DEP_1)
	v_fma_f64 v[4:5], v[2:3], s[4:5], s[2:3]
	s_mov_b32 s2, 0x623fde64
	s_mov_b32 s3, 0x3ec71dee
	;; [unrolled: 1-line block ×4, first 2 shown]
	v_fma_f64 v[4:5], v[2:3], v[4:5], s[2:3]
	s_mov_b32 s2, 0x7c89e6b0
	s_mov_b32 s3, 0x3efa0199
	s_delay_alu instid0(VALU_DEP_1) | instid1(SALU_CYCLE_1)
	v_fma_f64 v[4:5], v[2:3], v[4:5], s[2:3]
	s_mov_b32 s2, 0x14761f6e
	s_mov_b32 s3, 0x3f2a01a0
	s_delay_alu instid0(VALU_DEP_1) | instid1(SALU_CYCLE_1)
	;; [unrolled: 4-line block ×7, first 2 shown]
	v_fma_f64 v[4:5], v[2:3], v[4:5], s[2:3]
	s_mov_b32 s2, 0xc95a68be
	s_mov_b32 s3, 0x3f1f6fc8
	s_delay_alu instid0(VALU_DEP_1) | instskip(NEXT) | instid1(VALU_DEP_1)
	v_fma_f64 v[4:5], v[2:3], v[4:5], 1.0
	v_fma_f64 v[2:3], v[2:3], v[4:5], 1.0
	s_delay_alu instid0(VALU_DEP_1) | instskip(NEXT) | instid1(VALU_DEP_1)
	v_ldexp_f64 v[0:1], v[2:3], v0
	v_dual_cndmask_b32 v53, 0, v1 :: v_dual_cndmask_b32 v52, 0, v0
	v_fma_f64 v[0:1], v[10:11], s[4:5], s[2:3]
	s_mov_b32 s2, 0xb75c6a7d
	s_mov_b32 s3, 0xbf90538f
	s_mov_b32 s4, 0x4b993860
	s_mov_b32 s5, 0xbef0c9b8
	s_delay_alu instid0(VALU_DEP_1)
	v_fma_f64 v[0:1], v[10:11], v[0:1], s[2:3]
	s_mov_b32 s2, 0x23a9e0cf
	s_mov_b32 s3, 0x3ff227a5
	s_delay_alu instid0(VALU_DEP_1) | instid1(SALU_CYCLE_1)
	v_fma_f64 v[0:1], v[10:11], v[0:1], s[2:3]
	s_mov_b32 s2, 0xe6225023
	s_mov_b32 s3, 0xc0465c5e
	s_delay_alu instid0(VALU_DEP_1) | instid1(SALU_CYCLE_1)
	v_fma_f64 v[0:1], v[10:11], v[0:1], s[2:3]
	s_mov_b32 s2, 0x7546e5d8
	s_mov_b32 s3, 0x40909a0c
	s_delay_alu instid0(VALU_DEP_1) | instid1(SALU_CYCLE_1)
	v_fma_f64 v[0:1], v[10:11], v[0:1], s[2:3]
	s_mov_b32 s2, 0x247745c1
	s_mov_b32 s3, 0xc0cdb3b2
	s_delay_alu instid0(VALU_DEP_1) | instid1(SALU_CYCLE_1)
	v_fma_f64 v[0:1], v[10:11], v[0:1], s[2:3]
	s_mov_b32 s2, 0x319b9717
	s_mov_b32 s3, 0x40fd756e
	s_delay_alu instid0(VALU_DEP_1) | instid1(SALU_CYCLE_1)
	v_fma_f64 v[0:1], v[10:11], v[0:1], s[2:3]
	s_mov_b32 s2, 0x77a82cda
	s_mov_b32 s3, 0xc118da49
	s_delay_alu instid0(VALU_DEP_1) | instid1(SALU_CYCLE_1)
	v_fma_f64 v[0:1], v[10:11], v[0:1], s[2:3]
	s_mov_b32 s3, 0xbfbe19cf
	s_mov_b32 s2, 0x34ee1a66
	s_delay_alu instid0(SALU_CYCLE_1)
	v_add_f64 v[2:3], v[10:11], s[2:3]
	s_mov_b32 s3, 0x3fbe19cf
	s_delay_alu instid0(VALU_DEP_1) | instid1(SALU_CYCLE_1)
	v_div_scale_f64 v[4:5], null, v[2:3], v[2:3], s[2:3]
	s_delay_alu instid0(VALU_DEP_1) | instskip(SKIP_2) | instid1(VALU_DEP_1)
	v_rcp_f64_e32 v[6:7], v[4:5]
	s_waitcnt_depctr 0xfff
	v_fma_f64 v[14:15], -v[4:5], v[6:7], 1.0
	v_fma_f64 v[6:7], v[6:7], v[14:15], v[6:7]
	s_delay_alu instid0(VALU_DEP_1) | instskip(NEXT) | instid1(VALU_DEP_1)
	v_fma_f64 v[14:15], -v[4:5], v[6:7], 1.0
	v_fma_f64 v[6:7], v[6:7], v[14:15], v[6:7]
	v_div_scale_f64 v[14:15], vcc_lo, s[2:3], v[2:3], s[2:3]
	s_delay_alu instid0(VALU_DEP_1) | instskip(NEXT) | instid1(VALU_DEP_1)
	v_mul_f64 v[26:27], v[14:15], v[6:7]
	v_fma_f64 v[4:5], -v[4:5], v[26:27], v[14:15]
	s_delay_alu instid0(VALU_DEP_1) | instskip(NEXT) | instid1(VALU_DEP_1)
	v_div_fmas_f64 v[4:5], v[4:5], v[6:7], v[26:27]
	v_div_fixup_f64 v[2:3], v[4:5], v[2:3], s[2:3]
	s_mov_b32 s2, 0xe7ffdbf2
	s_mov_b32 s3, 0x3f5213a0
	s_delay_alu instid0(VALU_DEP_1)
	v_fma_f64 v[0:1], v[0:1], v[52:53], v[2:3]
	v_fma_f64 v[2:3], v[10:11], s[4:5], s[2:3]
	s_mov_b32 s2, 0x77e55c8b
	s_mov_b32 s3, 0xbfc334a1
	s_mov_b32 s4, 0xbd76181
	s_mov_b32 s5, 0xbf0788c4
	s_delay_alu instid0(VALU_DEP_1)
	v_fma_f64 v[2:3], v[10:11], v[2:3], s[2:3]
	s_mov_b32 s2, 0xc0e94c48
	s_mov_b32 s3, 0x40251cdb
	s_delay_alu instid0(VALU_DEP_1) | instid1(SALU_CYCLE_1)
	v_fma_f64 v[2:3], v[10:11], v[2:3], s[2:3]
	s_mov_b32 s2, 0x4647d599
	s_mov_b32 s3, 0xc079a780
	s_delay_alu instid0(VALU_DEP_1) | instid1(SALU_CYCLE_1)
	v_fma_f64 v[2:3], v[10:11], v[2:3], s[2:3]
	s_mov_b32 s2, 0xa73371c0
	s_mov_b32 s3, 0x40c2cd05
	s_delay_alu instid0(VALU_DEP_1) | instid1(SALU_CYCLE_1)
	v_fma_f64 v[2:3], v[10:11], v[2:3], s[2:3]
	s_mov_b32 s2, 0x8f075ded
	s_mov_b32 s3, 0xc1009680
	s_delay_alu instid0(VALU_DEP_1) | instid1(SALU_CYCLE_1)
	v_fma_f64 v[2:3], v[10:11], v[2:3], s[2:3]
	s_mov_b32 s2, 0xc537d8b4
	s_mov_b32 s3, 0x413030d3
	s_delay_alu instid0(VALU_DEP_1) | instid1(SALU_CYCLE_1)
	v_fma_f64 v[2:3], v[10:11], v[2:3], s[2:3]
	s_mov_b32 s2, 0xf6cdfc62
	s_mov_b32 s3, 0xc14acb31
	s_delay_alu instid0(VALU_DEP_1) | instid1(SALU_CYCLE_1)
	v_fma_f64 v[2:3], v[10:11], v[2:3], s[2:3]
	s_mov_b32 s3, 0xbff13167
	s_mov_b32 s2, 0xefcf0c01
	s_delay_alu instid0(SALU_CYCLE_1)
	v_add_f64 v[4:5], v[10:11], s[2:3]
	s_mov_b32 s3, 0x3ff13167
	s_delay_alu instid0(VALU_DEP_1) | instid1(SALU_CYCLE_1)
	v_div_scale_f64 v[6:7], null, v[4:5], v[4:5], s[2:3]
	s_delay_alu instid0(VALU_DEP_1) | instskip(SKIP_2) | instid1(VALU_DEP_1)
	v_rcp_f64_e32 v[14:15], v[6:7]
	s_waitcnt_depctr 0xfff
	v_fma_f64 v[26:27], -v[6:7], v[14:15], 1.0
	v_fma_f64 v[14:15], v[14:15], v[26:27], v[14:15]
	s_delay_alu instid0(VALU_DEP_1) | instskip(NEXT) | instid1(VALU_DEP_1)
	v_fma_f64 v[26:27], -v[6:7], v[14:15], 1.0
	v_fma_f64 v[14:15], v[14:15], v[26:27], v[14:15]
	v_div_scale_f64 v[26:27], vcc_lo, s[2:3], v[4:5], s[2:3]
	s_delay_alu instid0(VALU_DEP_1) | instskip(NEXT) | instid1(VALU_DEP_1)
	v_mul_f64 v[48:49], v[26:27], v[14:15]
	v_fma_f64 v[6:7], -v[6:7], v[48:49], v[26:27]
	s_delay_alu instid0(VALU_DEP_1) | instskip(NEXT) | instid1(VALU_DEP_1)
	v_div_fmas_f64 v[6:7], v[6:7], v[14:15], v[48:49]
	v_div_fixup_f64 v[4:5], v[6:7], v[4:5], s[2:3]
	s_mov_b32 s2, 0x92ad76d8
	s_mov_b32 s3, 0x3f6609dd
	s_delay_alu instid0(VALU_DEP_1)
	v_fma_f64 v[2:3], v[2:3], v[52:53], v[4:5]
	;; [unrolled: 57-line block ×5, first 2 shown]
	v_fma_f64 v[26:27], v[10:11], s[4:5], s[2:3]
	s_mov_b32 s2, 0xd4d3dfad
	s_mov_b32 s3, 0xbef1314a
	;; [unrolled: 1-line block ×4, first 2 shown]
	s_delay_alu instid0(VALU_DEP_1)
	v_fma_f64 v[26:27], v[10:11], v[26:27], s[2:3]
	s_mov_b32 s2, 0xe39df11
	s_mov_b32 s3, 0x3f52f8a2
	s_delay_alu instid0(VALU_DEP_1) | instid1(SALU_CYCLE_1)
	v_fma_f64 v[26:27], v[10:11], v[26:27], s[2:3]
	s_mov_b32 s2, 0x2a257d3e
	s_mov_b32 s3, 0xbfab2a55
	s_delay_alu instid0(VALU_DEP_1) | instid1(SALU_CYCLE_1)
	;; [unrolled: 4-line block ×7, first 2 shown]
	v_fma_f64 v[26:27], v[10:11], v[26:27], s[2:3]
	s_mov_b32 s2, 0x2c35b4c1
	s_mov_b32 s3, 0x3ee21487
	s_delay_alu instid0(VALU_DEP_1) | instskip(NEXT) | instid1(VALU_DEP_1)
	v_mul_f64 v[26:27], v[52:53], v[26:27]
	v_fma_f64 v[26:27], v[34:35], s[2:3], v[26:27]
	s_mov_b32 s2, 0xb73411fd
	s_mov_b32 s3, 0x3ee10aba
	s_delay_alu instid0(SALU_CYCLE_1) | instskip(SKIP_4) | instid1(VALU_DEP_1)
	v_fma_f64 v[48:49], v[10:11], s[4:5], s[2:3]
	s_mov_b32 s2, 0x8ebd8bfc
	s_mov_b32 s3, 0xbf4da36c
	;; [unrolled: 1-line block ×4, first 2 shown]
	v_fma_f64 v[48:49], v[10:11], v[48:49], s[2:3]
	s_mov_b32 s2, 0x34e75a00
	s_mov_b32 s3, 0x3fb05324
	s_delay_alu instid0(VALU_DEP_1) | instid1(SALU_CYCLE_1)
	v_fma_f64 v[48:49], v[10:11], v[48:49], s[2:3]
	s_mov_b32 s2, 0xf48ba53e
	s_mov_b32 s3, 0xc007b0db
	s_delay_alu instid0(VALU_DEP_1) | instid1(SALU_CYCLE_1)
	;; [unrolled: 4-line block ×7, first 2 shown]
	v_fma_f64 v[48:49], v[10:11], v[48:49], s[2:3]
	s_mov_b32 s2, 0xef7a4729
	s_mov_b32 s3, 0x3f58d728
	s_delay_alu instid0(VALU_DEP_1) | instskip(NEXT) | instid1(VALU_DEP_1)
	v_mul_f64 v[48:49], v[52:53], v[48:49]
	v_fma_f64 v[50:51], v[34:35], s[2:3], v[48:49]
	s_mov_b32 s2, 0x9b04194
	s_mov_b32 s3, 0xbf595e60
	s_delay_alu instid0(SALU_CYCLE_1) | instskip(SKIP_4) | instid1(VALU_DEP_1)
	v_fma_f64 v[48:49], v[10:11], s[4:5], s[2:3]
	s_mov_b32 s2, 0x40992d0d
	s_mov_b32 s3, 0x3fbe575b
	;; [unrolled: 1-line block ×4, first 2 shown]
	v_fma_f64 v[48:49], v[10:11], v[48:49], s[2:3]
	s_mov_b32 s2, 0x3f3b9825
	s_mov_b32 s3, 0xc01ac937
	s_delay_alu instid0(VALU_DEP_1) | instid1(SALU_CYCLE_1)
	v_fma_f64 v[48:49], v[10:11], v[48:49], s[2:3]
	s_mov_b32 s2, 0xa7735e56
	s_mov_b32 s3, 0x406e9942
	s_delay_alu instid0(VALU_DEP_1) | instid1(SALU_CYCLE_1)
	;; [unrolled: 4-line block ×6, first 2 shown]
	v_fma_f64 v[48:49], v[10:11], v[48:49], s[2:3]
	s_mov_b32 s2, 0x74e7187a
	s_mov_b32 s3, 0x3fa391fc
	s_delay_alu instid0(VALU_DEP_1) | instskip(NEXT) | instid1(VALU_DEP_1)
	v_mul_f64 v[48:49], v[48:49], v[52:53]
	v_fma_f64 v[48:49], v[34:35], s[2:3], v[48:49]
	s_mov_b32 s2, 0x643c4348
	s_mov_b32 s3, 0xbf624130
	s_delay_alu instid0(SALU_CYCLE_1)
	v_fma_f64 v[54:55], v[10:11], s[4:5], s[2:3]
	s_mov_b32 s2, 0x1ff2843f
	s_mov_b32 s3, 0x3fc49e31
	s_delay_alu instid0(VALU_DEP_1) | instid1(SALU_CYCLE_1)
	v_fma_f64 v[54:55], v[10:11], v[54:55], s[2:3]
	s_mov_b32 s2, 0xf597947f
	s_mov_b32 s3, 0xc021ef53
	s_delay_alu instid0(VALU_DEP_1) | instid1(SALU_CYCLE_1)
	;; [unrolled: 4-line block ×7, first 2 shown]
	v_fma_f64 v[10:11], v[10:11], v[54:55], s[2:3]
	s_mov_b32 s2, 0xacb87a1d
	s_mov_b32 s3, 0x3fd15787
	s_delay_alu instid0(VALU_DEP_1) | instskip(NEXT) | instid1(VALU_DEP_1)
	v_mul_f64 v[10:11], v[10:11], v[52:53]
	v_fma_f64 v[54:55], v[34:35], s[2:3], v[10:11]
	s_mov_b32 s2, 0xe963dc48
	s_mov_b32 s3, 0xbf941743
	s_delay_alu instid0(SALU_CYCLE_1) | instskip(NEXT) | instid1(VALU_DEP_1)
	v_fma_f64 v[10:11], v[52:53], s[2:3], v[34:35]
	v_add_f64 v[10:11], v[10:11], -v[54:55]
	s_delay_alu instid0(VALU_DEP_1) | instskip(NEXT) | instid1(VALU_DEP_1)
	v_add_f64 v[10:11], v[10:11], -v[48:49]
	v_add_f64 v[10:11], v[10:11], -v[50:51]
	s_delay_alu instid0(VALU_DEP_1)
	v_add_f64 v[52:53], v[10:11], -v[26:27]
.LBB0_18:
	s_or_b32 exec_lo, exec_lo, s0
                                        ; implicit-def: $vgpr10_vgpr11
.LBB0_19:
	s_and_not1_saveexec_b32 s0, s48
	s_cbranch_execz .LBB0_21
; %bb.20:
	v_add_f64 v[10:11], 0xc0368000, v[10:11]
	s_mov_b32 s2, 0xb494a3dd
	s_mov_b32 s4, 0xd7ebac3b
	;; [unrolled: 1-line block ×8, first 2 shown]
	s_delay_alu instid0(VALU_DEP_1)
	v_fma_f64 v[0:1], v[10:11], s[4:5], s[2:3]
	s_mov_b32 s4, 0xacf105c4
	s_mov_b32 s5, 0xbc46a550
	;; [unrolled: 1-line block ×3, first 2 shown]
	v_fma_f64 v[2:3], v[10:11], s[6:7], s[4:5]
	s_mov_b32 s4, 0x7efc761d
	s_mov_b32 s3, 0xbd0b89e6
	;; [unrolled: 1-line block ×4, first 2 shown]
	v_fma_f64 v[4:5], v[10:11], s[4:5], s[2:3]
	s_mov_b32 s2, 0x67ef8a26
	s_mov_b32 s4, 0xf6e016b7
	;; [unrolled: 1-line block ×5, first 2 shown]
	v_fma_f64 v[6:7], v[10:11], s[4:5], s[2:3]
	s_mov_b32 s2, 0x9c02fb10
	s_mov_b32 s4, 0xf3bd5140
	;; [unrolled: 1-line block ×4, first 2 shown]
	s_delay_alu instid0(SALU_CYCLE_1)
	v_fma_f64 v[26:27], v[10:11], s[4:5], s[2:3]
	s_mov_b32 s2, 0xd6a677e
	s_mov_b32 s4, 0x6e6a47a8
	;; [unrolled: 1-line block ×4, first 2 shown]
	v_fma_f64 v[0:1], v[10:11], v[0:1], s[8:9]
	s_mov_b32 s8, 0xd96f1c87
	s_mov_b32 s9, 0x3d0e17f0
	s_delay_alu instid0(SALU_CYCLE_1)
	v_fma_f64 v[14:15], v[10:11], s[8:9], s[6:7]
	v_fma_f64 v[2:3], v[10:11], v[2:3], s[2:3]
	s_mov_b32 s2, 0xe7d2b0fe
	s_mov_b32 s6, 0xa96dd3cb
	;; [unrolled: 1-line block ×5, first 2 shown]
	v_fma_f64 v[4:5], v[10:11], v[4:5], s[6:7]
	s_mov_b32 s6, 0xb6a0e341
	s_mov_b32 s7, 0xbd047fbe
	;; [unrolled: 1-line block ×3, first 2 shown]
	s_delay_alu instid0(VALU_DEP_4) | instskip(SKIP_2) | instid1(SALU_CYCLE_1)
	v_fma_f64 v[0:1], v[10:11], v[0:1], s[4:5]
	s_mov_b32 s4, 0xa145b792
	s_mov_b32 s5, 0xbcd485fe
	v_fma_f64 v[34:35], v[10:11], s[4:5], s[2:3]
	s_mov_b32 s2, 0xdcde2a65
	s_mov_b32 s4, 0x6bb399b6
	;; [unrolled: 1-line block ×4, first 2 shown]
	v_fma_f64 v[6:7], v[10:11], v[6:7], s[2:3]
	v_fma_f64 v[14:15], v[10:11], v[14:15], s[4:5]
	s_mov_b32 s2, 0x8bd3c013
	s_mov_b32 s4, 0x3167b143
	;; [unrolled: 1-line block ×4, first 2 shown]
	v_fma_f64 v[26:27], v[10:11], v[26:27], s[2:3]
	v_fma_f64 v[48:49], v[10:11], s[6:7], s[4:5]
	s_mov_b32 s2, 0x862daea3
	s_mov_b32 s4, 0xbc89c281
	;; [unrolled: 1-line block ×6, first 2 shown]
	v_fma_f64 v[50:51], v[10:11], s[4:5], s[2:3]
	v_fma_f64 v[52:53], v[10:11], s[8:9], s[6:7]
	s_mov_b32 s2, 0xaed5533c
	s_mov_b32 s4, 0x719e141e
	s_mov_b32 s3, 0xbd033347
	s_mov_b32 s5, 0xbcc154b4
	v_fma_f64 v[2:3], v[10:11], v[2:3], s[2:3]
	s_mov_b32 s2, 0xd81a9f5b
	s_mov_b32 s3, 0x3d4459b3
	v_fma_f64 v[0:1], v[10:11], v[0:1], s[4:5]
	s_mov_b32 s4, 0x9d44d214
	s_mov_b32 s5, 0x3d7d063f
	v_fma_f64 v[34:35], v[10:11], v[34:35], s[2:3]
	v_fma_f64 v[4:5], v[10:11], v[4:5], s[4:5]
	s_mov_b32 s2, 0x978c36f2
	s_mov_b32 s4, 0xbc17fdfa
	s_mov_b32 s3, 0x3da09822
	s_mov_b32 s5, 0x3dc1a4ff
	v_fma_f64 v[6:7], v[10:11], v[6:7], s[2:3]
	v_fma_f64 v[14:15], v[10:11], v[14:15], s[4:5]
	s_mov_b32 s2, 0x30d50373
	s_mov_b32 s4, 0x2467f89
	s_mov_b32 s3, 0xbdf21661
	s_mov_b32 s5, 0x3d6b813e
	v_fma_f64 v[26:27], v[10:11], v[26:27], s[2:3]
	v_fma_f64 v[48:49], v[10:11], v[48:49], s[4:5]
	s_mov_b32 s2, 0x4b9335f4
	s_mov_b32 s4, 0x25e98841
	s_mov_b32 s3, 0xbd50991e
	s_mov_b32 s5, 0xbd2767b9
	v_fma_f64 v[50:51], v[10:11], v[50:51], s[2:3]
	v_fma_f64 v[52:53], v[10:11], v[52:53], s[4:5]
	s_mov_b32 s2, 0x67a2f4b7
	s_mov_b32 s4, 0xe6b400c6
	s_mov_b32 s3, 0x3d2b2bea
	s_mov_b32 s5, 0x3cf841fe
	v_fma_f64 v[2:3], v[10:11], v[2:3], s[2:3]
	s_mov_b32 s2, 0x5dcfbb4c
	s_mov_b32 s3, 0xbd878b66
	v_fma_f64 v[0:1], v[10:11], v[0:1], s[4:5]
	s_mov_b32 s4, 0x2a0c837e
	s_mov_b32 s5, 0xbdbe0376
	v_fma_f64 v[34:35], v[10:11], v[34:35], s[2:3]
	v_fma_f64 v[4:5], v[10:11], v[4:5], s[4:5]
	s_mov_b32 s2, 0xcec28078
	s_mov_b32 s4, 0x27cd4e4e
	s_mov_b32 s3, 0xbdda7c7b
	s_mov_b32 s5, 0xbdec86d9
	v_fma_f64 v[6:7], v[10:11], v[6:7], s[2:3]
	v_fma_f64 v[14:15], v[10:11], v[14:15], s[4:5]
	s_mov_b32 s2, 0xdeae550f
	s_mov_b32 s4, 0x4c62311d
	s_mov_b32 s3, 0x3e34a29f
	s_mov_b32 s5, 0xbdbc02e9
	v_fma_f64 v[26:27], v[10:11], v[26:27], s[2:3]
	v_fma_f64 v[48:49], v[10:11], v[48:49], s[4:5]
	s_mov_b32 s2, 0xa4c657e5
	s_mov_b32 s4, 0x27b86fcc
	s_mov_b32 s3, 0x3da22ab6
	s_mov_b32 s5, 0x3d92894c
	;; [unrolled: 30-line block ×9, first 2 shown]
	v_fma_f64 v[54:55], v[10:11], v[50:51], s[2:3]
	v_fma_f64 v[48:49], v[10:11], v[113:114], s[4:5]
	s_mov_b32 s2, 0x8ae17282
	s_mov_b32 s4, 0xe24002e5
	;; [unrolled: 1-line block ×4, first 2 shown]
	v_fma_f64 v[50:51], v[10:11], v[115:116], s[2:3]
	v_fma_f64 v[26:27], v[10:11], v[117:118], s[4:5]
.LBB0_21:
	s_or_b32 exec_lo, exec_lo, s0
                                        ; implicit-def: $vgpr10_vgpr11
.LBB0_22:
	s_and_not1_saveexec_b32 s0, s47
	s_cbranch_execz .LBB0_24
; %bb.23:
	v_add_f64 v[10:11], 0xc0318000, v[10:11]
	s_mov_b32 s2, 0xf57d67dc
	s_mov_b32 s4, 0x87adc0a8
	;; [unrolled: 1-line block ×10, first 2 shown]
	s_delay_alu instid0(VALU_DEP_1)
	v_fma_f64 v[0:1], v[10:11], s[4:5], s[2:3]
	s_mov_b32 s2, 0xcefeb36e
	s_mov_b32 s3, 0x3c5bcf8e
	;; [unrolled: 1-line block ×4, first 2 shown]
	v_fma_f64 v[6:7], v[10:11], s[8:9], s[6:7]
	s_mov_b32 s6, 0x3b6483ef
	s_mov_b32 s8, 0xdd29cda0
	;; [unrolled: 1-line block ×4, first 2 shown]
	s_delay_alu instid0(SALU_CYCLE_1) | instskip(SKIP_4) | instid1(VALU_DEP_3)
	v_fma_f64 v[26:27], v[10:11], s[8:9], s[6:7]
	s_mov_b32 s6, 0x57c7e6bf
	s_mov_b32 s7, 0x3d611900
	;; [unrolled: 1-line block ×4, first 2 shown]
	v_fma_f64 v[0:1], v[10:11], v[0:1], s[2:3]
	s_mov_b32 s2, 0xdac67185
	s_mov_b32 s3, 0x3d15dc0d
	s_delay_alu instid0(SALU_CYCLE_1) | instskip(SKIP_4) | instid1(SALU_CYCLE_1)
	v_fma_f64 v[2:3], v[10:11], s[4:5], s[2:3]
	s_mov_b32 s2, 0x1810027c
	s_mov_b32 s4, 0x55bc102d
	;; [unrolled: 1-line block ×4, first 2 shown]
	v_fma_f64 v[4:5], v[10:11], s[4:5], s[2:3]
	s_mov_b32 s2, 0xd2b66658
	s_mov_b32 s4, 0x5bd5d537
	;; [unrolled: 1-line block ×4, first 2 shown]
	s_delay_alu instid0(SALU_CYCLE_1) | instskip(SKIP_4) | instid1(SALU_CYCLE_1)
	v_fma_f64 v[14:15], v[10:11], s[4:5], s[2:3]
	s_mov_b32 s2, 0x52b10c81
	s_mov_b32 s4, 0x9b94ce7d
	;; [unrolled: 1-line block ×4, first 2 shown]
	v_fma_f64 v[34:35], v[10:11], s[4:5], s[2:3]
	s_mov_b32 s2, 0x61ce1b52
	s_mov_b32 s4, 0xd07f41a4
	;; [unrolled: 1-line block ×4, first 2 shown]
	v_fma_f64 v[0:1], v[10:11], v[0:1], s[12:13]
	v_fma_f64 v[2:3], v[10:11], v[2:3], s[6:7]
	s_mov_b32 s6, 0xf1892add
	s_mov_b32 s7, 0x3cdf7f29
	s_delay_alu instid0(SALU_CYCLE_1)
	v_fma_f64 v[48:49], v[10:11], s[6:7], s[4:5]
	s_mov_b32 s4, 0xdc4475ab
	v_fma_f64 v[4:5], v[10:11], v[4:5], s[2:3]
	s_mov_b32 s2, 0xa23d859
	s_mov_b32 s6, 0x744f3bc
	;; [unrolled: 1-line block ×5, first 2 shown]
	v_fma_f64 v[50:51], v[10:11], s[4:5], s[2:3]
	v_fma_f64 v[52:53], v[10:11], s[8:9], s[6:7]
	s_mov_b32 s2, 0xa18918b2
	s_mov_b32 s4, 0x8b264660
	s_mov_b32 s3, 0x3cf55e9f
	s_mov_b32 s5, 0x3cd674ec
	v_fma_f64 v[6:7], v[10:11], v[6:7], s[2:3]
	s_mov_b32 s2, 0xe0167c9f
	s_mov_b32 s3, 0xbd225b6a
	s_delay_alu instid0(SALU_CYCLE_1) | instskip(SKIP_2) | instid1(SALU_CYCLE_1)
	v_fma_f64 v[14:15], v[10:11], v[14:15], s[2:3]
	s_mov_b32 s2, 0xed8068e7
	s_mov_b32 s3, 0xbd75fc81
	v_fma_f64 v[34:35], v[10:11], v[34:35], s[2:3]
	s_mov_b32 s2, 0x98767540
	s_mov_b32 s3, 0xbda10e1f
	v_fma_f64 v[0:1], v[10:11], v[0:1], s[4:5]
	s_mov_b32 s4, 0x592d939d
	s_mov_b32 s5, 0xbd57d287
	s_delay_alu instid0(SALU_CYCLE_1) | instskip(SKIP_2) | instid1(SALU_CYCLE_1)
	v_fma_f64 v[26:27], v[10:11], v[26:27], s[4:5]
	s_mov_b32 s4, 0x39bedc0a
	s_mov_b32 s5, 0xbd8c4c8d
	v_fma_f64 v[2:3], v[10:11], v[2:3], s[4:5]
	s_mov_b32 s4, 0xf1e8a560
	s_mov_b32 s5, 0xbd551d81
	v_fma_f64 v[4:5], v[10:11], v[4:5], s[2:3]
	v_fma_f64 v[48:49], v[10:11], v[48:49], s[4:5]
	s_mov_b32 s2, 0xa5dec987
	s_mov_b32 s4, 0x6b4963ff
	s_mov_b32 s3, 0x3d412db9
	s_mov_b32 s5, 0x3ce77967
	v_fma_f64 v[50:51], v[10:11], v[50:51], s[2:3]
	v_fma_f64 v[52:53], v[10:11], v[52:53], s[4:5]
	s_mov_b32 s2, 0x43e2c15c
	s_mov_b32 s4, 0x6e864353
	s_mov_b32 s3, 0xbd30fbd2
	s_mov_b32 s5, 0xbd11a98e
	v_fma_f64 v[6:7], v[10:11], v[6:7], s[2:3]
	s_mov_b32 s2, 0x8dcffaa9
	s_mov_b32 s3, 0xbd40b3b9
	s_delay_alu instid0(SALU_CYCLE_1) | instskip(SKIP_2) | instid1(SALU_CYCLE_1)
	v_fma_f64 v[14:15], v[10:11], v[14:15], s[2:3]
	s_mov_b32 s2, 0x76fdbc54
	s_mov_b32 s3, 0xbda67225
	v_fma_f64 v[34:35], v[10:11], v[34:35], s[2:3]
	s_mov_b32 s2, 0x965a09b3
	s_mov_b32 s3, 0x3e104eb5
	v_fma_f64 v[0:1], v[10:11], v[0:1], s[4:5]
	s_mov_b32 s4, 0x65dd014f
	s_mov_b32 s5, 0xbd7c6c44
	s_delay_alu instid0(SALU_CYCLE_1) | instskip(SKIP_2) | instid1(SALU_CYCLE_1)
	v_fma_f64 v[26:27], v[10:11], v[26:27], s[4:5]
	s_mov_b32 s4, 0xa4de9833
	s_mov_b32 s5, 0xbdd492c3
	v_fma_f64 v[2:3], v[10:11], v[2:3], s[4:5]
	s_mov_b32 s4, 0x933df355
	s_mov_b32 s5, 0x3d4c726d
	v_fma_f64 v[4:5], v[10:11], v[4:5], s[2:3]
	v_fma_f64 v[48:49], v[10:11], v[48:49], s[4:5]
	s_mov_b32 s2, 0x6e3db02e
	s_mov_b32 s4, 0xcfca7465
	s_mov_b32 s3, 0x3d766e65
	s_mov_b32 s5, 0x3d81731e
	;; [unrolled: 32-line block ×9, first 2 shown]
	v_fma_f64 v[50:51], v[10:11], v[50:51], s[2:3]
	v_fma_f64 v[115:116], v[10:11], v[52:53], s[4:5]
	s_mov_b32 s2, 0x6fa418e7
	s_mov_b32 s4, 0x2fc7211a
	;; [unrolled: 1-line block ×4, first 2 shown]
	v_fma_f64 v[117:118], v[10:11], v[6:7], s[2:3]
	s_mov_b32 s2, 0xf7274d21
	s_mov_b32 s3, 0x3f7b5a0f
	v_fma_f64 v[128:129], v[10:11], v[0:1], s[4:5]
	s_mov_b32 s4, 0x2911b19e
	s_mov_b32 s5, 0x3fb0827f
	v_fma_f64 v[0:1], v[10:11], v[14:15], s[2:3]
	v_fma_f64 v[2:3], v[10:11], v[26:27], s[4:5]
	s_mov_b32 s2, 0xeccf1362
	s_mov_b32 s4, 0x6d8dfa60
	s_mov_b32 s3, 0x3fcae948
	s_mov_b32 s5, 0x3fe1fd4d
	v_fma_f64 v[4:5], v[10:11], v[34:35], s[2:3]
	v_fma_f64 v[6:7], v[10:11], v[54:55], s[4:5]
	s_mov_b32 s2, 0x2d8bf199
	s_mov_b32 s4, 0xd5b39aab
	;; [unrolled: 6-line block ×4, first 2 shown]
	s_mov_b32 s3, 0x3f374158
	s_mov_b32 s5, 0x3ec4710b
	v_fma_f64 v[50:51], v[10:11], v[117:118], s[2:3]
	v_fma_f64 v[26:27], v[10:11], v[128:129], s[4:5]
.LBB0_24:
	s_or_b32 exec_lo, exec_lo, s0
                                        ; implicit-def: $vgpr10_vgpr11
.LBB0_25:
	s_and_not1_saveexec_b32 s0, s46
	s_cbranch_execz .LBB0_27
; %bb.26:
	v_add_f64 v[10:11], 0xc0290000, v[10:11]
	s_mov_b32 s2, 0x1597301d
	s_mov_b32 s4, 0x69491c8c
	;; [unrolled: 1-line block ×8, first 2 shown]
	s_delay_alu instid0(VALU_DEP_1) | instskip(SKIP_4) | instid1(SALU_CYCLE_1)
	v_fma_f64 v[0:1], v[10:11], s[4:5], s[2:3]
	s_mov_b32 s2, 0x324f96b8
	s_mov_b32 s4, 0x667a3f1f
	;; [unrolled: 1-line block ×4, first 2 shown]
	v_fma_f64 v[2:3], v[10:11], s[4:5], s[2:3]
	s_mov_b32 s2, 0x72ff556d
	s_mov_b32 s4, 0xa787b08b
	;; [unrolled: 1-line block ×4, first 2 shown]
	s_delay_alu instid0(VALU_DEP_2) | instskip(SKIP_2) | instid1(VALU_DEP_2)
	v_fma_f64 v[0:1], v[10:11], v[0:1], s[6:7]
	s_mov_b32 s6, 0x3d981884
	s_mov_b32 s7, 0x3cc9f8e1
	v_fma_f64 v[2:3], v[10:11], v[2:3], s[2:3]
	s_mov_b32 s2, 0xdb40a2be
	s_mov_b32 s3, 0x3d2b6da6
	s_delay_alu instid0(VALU_DEP_2) | instskip(SKIP_2) | instid1(SALU_CYCLE_1)
	v_fma_f64 v[0:1], v[10:11], v[0:1], s[4:5]
	s_mov_b32 s4, 0x1ab105bb
	s_mov_b32 s5, 0xbd1942ea
	v_fma_f64 v[4:5], v[10:11], s[4:5], s[2:3]
	s_mov_b32 s2, 0x79c7fa83
	s_mov_b32 s4, 0x61dd8f67
	;; [unrolled: 1-line block ×4, first 2 shown]
	s_delay_alu instid0(SALU_CYCLE_1) | instskip(SKIP_4) | instid1(VALU_DEP_4)
	v_fma_f64 v[6:7], v[10:11], s[4:5], s[2:3]
	s_mov_b32 s2, 0x50bf5eff
	s_mov_b32 s4, 0xea4f609c
	;; [unrolled: 1-line block ×4, first 2 shown]
	v_fma_f64 v[2:3], v[10:11], v[2:3], s[2:3]
	s_mov_b32 s2, 0x4d6c9a3b
	s_mov_b32 s3, 0xbc8800cd
	s_delay_alu instid0(SALU_CYCLE_1)
	v_fma_f64 v[14:15], v[10:11], s[2:3], s[6:7]
	s_mov_b32 s2, 0xde26dce1
	s_mov_b32 s6, 0xc3b7d8bf
	;; [unrolled: 1-line block ×4, first 2 shown]
	v_fma_f64 v[0:1], v[10:11], v[0:1], s[4:5]
	s_mov_b32 s4, 0x2e31aec3
	s_mov_b32 s5, 0x3cfc2516
	s_delay_alu instid0(SALU_CYCLE_1)
	v_fma_f64 v[26:27], v[10:11], s[8:9], s[4:5]
	s_mov_b32 s4, 0x23164ea6
	s_mov_b32 s8, 0xdf57221e
	;; [unrolled: 1-line block ×4, first 2 shown]
	v_fma_f64 v[34:35], v[10:11], s[4:5], s[2:3]
	v_fma_f64 v[48:49], v[10:11], s[8:9], s[6:7]
	s_mov_b32 s2, 0x7be99d25
	s_mov_b32 s3, 0x3d9892d1
	;; [unrolled: 1-line block ×3, first 2 shown]
	v_fma_f64 v[4:5], v[10:11], v[4:5], s[2:3]
	s_mov_b32 s2, 0x5fc3e8cf
	s_mov_b32 s6, 0x275ae779
	;; [unrolled: 1-line block ×5, first 2 shown]
	v_fma_f64 v[50:51], v[10:11], s[4:5], s[2:3]
	v_fma_f64 v[6:7], v[10:11], v[6:7], s[6:7]
	s_mov_b32 s2, 0x650fed32
	s_mov_b32 s4, 0x2eb8143d
	;; [unrolled: 1-line block ×4, first 2 shown]
	v_fma_f64 v[2:3], v[10:11], v[2:3], s[2:3]
	s_mov_b32 s2, 0x3b4af91c
	s_mov_b32 s3, 0x3d0f6f5b
	;; [unrolled: 1-line block ×3, first 2 shown]
	v_fma_f64 v[14:15], v[10:11], v[14:15], s[2:3]
	s_mov_b32 s2, 0x9258d859
	s_mov_b32 s3, 0x3d6bbd8d
	;; [unrolled: 1-line block ×3, first 2 shown]
	v_fma_f64 v[0:1], v[10:11], v[0:1], s[4:5]
	s_mov_b32 s4, 0x73251650
	s_mov_b32 s5, 0x3d48756e
	s_delay_alu instid0(SALU_CYCLE_1)
	v_fma_f64 v[26:27], v[10:11], v[26:27], s[4:5]
	s_mov_b32 s4, 0x49881b39
	s_mov_b32 s5, 0x3d6f8732
	v_fma_f64 v[34:35], v[10:11], v[34:35], s[2:3]
	v_fma_f64 v[48:49], v[10:11], v[48:49], s[4:5]
	s_mov_b32 s2, 0xe548c8ce
	s_mov_b32 s4, 0x8fe1b4c0
	s_mov_b32 s3, 0xbd8ac94c
	s_mov_b32 s5, 0x3d346d07
	v_fma_f64 v[4:5], v[10:11], v[4:5], s[2:3]
	v_fma_f64 v[52:53], v[10:11], s[6:7], s[4:5]
	s_mov_b32 s2, 0xc885dd0a
	s_mov_b32 s4, 0x1a07c712
	s_mov_b32 s3, 0xbd635a41
	s_mov_b32 s5, 0xbd7ec507
	v_fma_f64 v[50:51], v[10:11], v[50:51], s[2:3]
	v_fma_f64 v[6:7], v[10:11], v[6:7], s[4:5]
	s_mov_b32 s2, 0xcf52a20a
	s_mov_b32 s4, 0x4e141786
	s_mov_b32 s3, 0xbd822d16
	s_mov_b32 s5, 0xbd709e30
	v_fma_f64 v[2:3], v[10:11], v[2:3], s[2:3]
	s_mov_b32 s2, 0x779e3f29
	s_mov_b32 s3, 0x3d249b50
	s_delay_alu instid0(SALU_CYCLE_1)
	v_fma_f64 v[14:15], v[10:11], v[14:15], s[2:3]
	s_mov_b32 s2, 0xf4e02f3e
	s_mov_b32 s3, 0xbd6fbf8d
	v_fma_f64 v[0:1], v[10:11], v[0:1], s[4:5]
	s_mov_b32 s4, 0x22a1d1ca
	s_mov_b32 s5, 0x3d393b64
	s_delay_alu instid0(SALU_CYCLE_1)
	v_fma_f64 v[26:27], v[10:11], v[26:27], s[4:5]
	s_mov_b32 s4, 0xc44fc871
	s_mov_b32 s5, 0x3dccaa44
	v_fma_f64 v[34:35], v[10:11], v[34:35], s[2:3]
	v_fma_f64 v[48:49], v[10:11], v[48:49], s[4:5]
	s_mov_b32 s2, 0x57061686
	s_mov_b32 s4, 0x2b3a695b
	s_mov_b32 s3, 0xbe150723
	s_mov_b32 s5, 0x3d307872
	v_fma_f64 v[4:5], v[10:11], v[4:5], s[2:3]
	v_fma_f64 v[52:53], v[10:11], v[52:53], s[4:5]
	s_mov_b32 s2, 0xb1610f8b
	s_mov_b32 s4, 0x57c691d4
	s_mov_b32 s3, 0x3da6132b
	s_mov_b32 s5, 0x3dbe70a5
	v_fma_f64 v[50:51], v[10:11], v[50:51], s[2:3]
	v_fma_f64 v[6:7], v[10:11], v[6:7], s[4:5]
	s_mov_b32 s2, 0xe80b56bf
	s_mov_b32 s4, 0xdb22a9a8
	s_mov_b32 s3, 0x3dbd765d
	s_mov_b32 s5, 0x3da66436
	v_fma_f64 v[2:3], v[10:11], v[2:3], s[2:3]
	s_mov_b32 s2, 0x2769b7e0
	s_mov_b32 s3, 0xbd9245f4
	s_delay_alu instid0(SALU_CYCLE_1)
	v_fma_f64 v[14:15], v[10:11], v[14:15], s[2:3]
	s_mov_b32 s2, 0xd817871d
	s_mov_b32 s3, 0xbdcff69e
	;; [unrolled: 32-line block ×8, first 2 shown]
	v_fma_f64 v[0:1], v[10:11], v[0:1], s[4:5]
	s_mov_b32 s4, 0xd1bcb01
	s_mov_b32 s5, 0xbf76b8d4
	s_delay_alu instid0(SALU_CYCLE_1)
	v_fma_f64 v[26:27], v[10:11], v[26:27], s[4:5]
	s_mov_b32 s4, 0xcba90c41
	s_mov_b32 s5, 0xbfb44131
	v_fma_f64 v[34:35], v[10:11], v[34:35], s[2:3]
	v_fma_f64 v[48:49], v[10:11], v[48:49], s[4:5]
	s_mov_b32 s2, 0x37cae53e
	s_mov_b32 s4, 0xb68f9c23
	s_mov_b32 s3, 0xbfe27527
	s_mov_b32 s5, 0xbf760eef
	v_fma_f64 v[54:55], v[10:11], v[4:5], s[2:3]
	v_fma_f64 v[52:53], v[10:11], v[52:53], s[4:5]
	s_mov_b32 s2, 0x18ec84a1
	s_mov_b32 s4, 0x57f46cc6
	;; [unrolled: 6-line block ×3, first 2 shown]
	s_mov_b32 s3, 0xbf1f4f16
	s_mov_b32 s5, 0xbed2126b
	v_fma_f64 v[115:116], v[10:11], v[2:3], s[2:3]
	s_mov_b32 s2, 0xd0812840
	s_mov_b32 s3, 0x3f822118
	v_fma_f64 v[117:118], v[10:11], v[0:1], s[4:5]
	;; [unrolled: 3-line block ×3, first 2 shown]
	v_fma_f64 v[2:3], v[10:11], v[26:27], s[4:5]
	s_mov_b32 s2, 0x64780042
	s_mov_b32 s4, 0x34745624
	s_mov_b32 s3, 0x3fd2d35d
	s_mov_b32 s5, 0x3feb8598
	v_fma_f64 v[4:5], v[10:11], v[34:35], s[2:3]
	v_fma_f64 v[6:7], v[10:11], v[48:49], s[4:5]
	s_mov_b32 s2, 0x9bac35db
	s_mov_b32 s4, 0x8f5a0229
	s_mov_b32 s3, 0x400efc7b
	s_mov_b32 s5, 0x3fc5850a
	v_fma_f64 v[14:15], v[10:11], v[54:55], s[2:3]
	;; [unrolled: 6-line block ×4, first 2 shown]
	v_fma_f64 v[26:27], v[10:11], v[117:118], s[4:5]
.LBB0_27:
	s_or_b32 exec_lo, exec_lo, s0
                                        ; implicit-def: $vgpr10_vgpr11
.LBB0_28:
	s_and_not1_saveexec_b32 s0, s35
	s_cbranch_execz .LBB0_30
; %bb.29:
	v_add_f64 v[10:11], 0xc01e0000, v[10:11]
	s_mov_b32 s2, 0x2b78eec9
	s_mov_b32 s4, 0x8adfe63c
	;; [unrolled: 1-line block ×6, first 2 shown]
	s_delay_alu instid0(VALU_DEP_1) | instskip(SKIP_4) | instid1(SALU_CYCLE_1)
	v_fma_f64 v[0:1], v[10:11], s[4:5], s[2:3]
	s_mov_b32 s2, 0x2a6491ab
	s_mov_b32 s4, 0x5a8dc915
	;; [unrolled: 1-line block ×4, first 2 shown]
	v_fma_f64 v[2:3], v[10:11], s[4:5], s[2:3]
	s_mov_b32 s2, 0xa828f8e
	s_mov_b32 s4, 0xa7d44235
	s_mov_b32 s3, 0xbce89767
	s_mov_b32 s5, 0xbce9e948
	s_delay_alu instid0(VALU_DEP_2) | instskip(SKIP_2) | instid1(VALU_DEP_2)
	v_fma_f64 v[0:1], v[10:11], v[0:1], s[6:7]
	s_mov_b32 s6, 0xdcee7665
	s_mov_b32 s7, 0xbd4c7821
	v_fma_f64 v[2:3], v[10:11], v[2:3], s[2:3]
	s_mov_b32 s2, 0x598aa2e3
	s_mov_b32 s3, 0x3d0eee09
	s_delay_alu instid0(VALU_DEP_2) | instskip(SKIP_2) | instid1(SALU_CYCLE_1)
	v_fma_f64 v[0:1], v[10:11], v[0:1], s[4:5]
	s_mov_b32 s4, 0xf735ac63
	s_mov_b32 s5, 0xbccd93bc
	v_fma_f64 v[4:5], v[10:11], s[4:5], s[2:3]
	s_mov_b32 s2, 0x534d4770
	s_mov_b32 s4, 0x48581dae
	;; [unrolled: 1-line block ×4, first 2 shown]
	s_delay_alu instid0(VALU_DEP_3) | instskip(SKIP_2) | instid1(VALU_DEP_3)
	v_fma_f64 v[2:3], v[10:11], v[2:3], s[2:3]
	s_mov_b32 s2, 0xd0bb85bd
	s_mov_b32 s3, 0xbd1a6043
	v_fma_f64 v[0:1], v[10:11], v[0:1], s[4:5]
	s_mov_b32 s4, 0xb16f950
	s_mov_b32 s5, 0x3cd6a3e8
	s_delay_alu instid0(SALU_CYCLE_1) | instskip(NEXT) | instid1(VALU_DEP_4)
	v_fma_f64 v[6:7], v[10:11], s[4:5], s[2:3]
	v_fma_f64 v[4:5], v[10:11], v[4:5], s[6:7]
	s_mov_b32 s2, 0xaf7b6d71
	s_mov_b32 s4, 0x66878a23
	;; [unrolled: 1-line block ×4, first 2 shown]
	s_delay_alu instid0(VALU_DEP_4) | instskip(SKIP_4) | instid1(VALU_DEP_4)
	v_fma_f64 v[2:3], v[10:11], v[2:3], s[2:3]
	s_mov_b32 s2, 0x82fdf84b
	s_mov_b32 s3, 0x3d168206
	;; [unrolled: 1-line block ×4, first 2 shown]
	v_fma_f64 v[0:1], v[10:11], v[0:1], s[4:5]
	s_mov_b32 s4, 0xcf4040d3
	s_mov_b32 s5, 0xbd0cc80a
	s_delay_alu instid0(SALU_CYCLE_1) | instskip(SKIP_4) | instid1(SALU_CYCLE_1)
	v_fma_f64 v[14:15], v[10:11], s[4:5], s[2:3]
	s_mov_b32 s2, 0x8b7ba76c
	s_mov_b32 s4, 0x25f57856
	;; [unrolled: 1-line block ×4, first 2 shown]
	v_fma_f64 v[26:27], v[10:11], s[4:5], s[2:3]
	s_mov_b32 s2, 0x42e9a33d
	s_mov_b32 s4, 0xeb2d1e87
	;; [unrolled: 1-line block ×4, first 2 shown]
	v_fma_f64 v[6:7], v[10:11], v[6:7], s[2:3]
	v_fma_f64 v[4:5], v[10:11], v[4:5], s[4:5]
	s_mov_b32 s2, 0x6107b2b8
	s_mov_b32 s4, 0x1d28ef5c
	;; [unrolled: 1-line block ×4, first 2 shown]
	v_fma_f64 v[2:3], v[10:11], v[2:3], s[2:3]
	s_mov_b32 s2, 0xcf7fb619
	s_mov_b32 s3, 0x3d0ccb90
	v_fma_f64 v[0:1], v[10:11], v[0:1], s[4:5]
	s_mov_b32 s4, 0x89976343
	s_mov_b32 s5, 0xbcf08912
	s_delay_alu instid0(SALU_CYCLE_1)
	v_fma_f64 v[34:35], v[10:11], s[4:5], s[2:3]
	s_mov_b32 s2, 0x352ff8a5
	s_mov_b32 s4, 0x3d7689a9
	;; [unrolled: 1-line block ×4, first 2 shown]
	v_fma_f64 v[14:15], v[10:11], v[14:15], s[6:7]
	v_fma_f64 v[48:49], v[10:11], s[4:5], s[2:3]
	s_mov_b32 s2, 0xda670191
	s_mov_b32 s4, 0x4e41c8a5
	;; [unrolled: 1-line block ×6, first 2 shown]
	v_fma_f64 v[26:27], v[10:11], v[26:27], s[2:3]
	v_fma_f64 v[50:51], v[10:11], s[6:7], s[4:5]
	s_mov_b32 s2, 0xf0ddbcb9
	s_mov_b32 s4, 0x535fa1cf
	;; [unrolled: 1-line block ×4, first 2 shown]
	v_fma_f64 v[6:7], v[10:11], v[6:7], s[2:3]
	v_fma_f64 v[4:5], v[10:11], v[4:5], s[4:5]
	s_mov_b32 s2, 0x67a63bde
	s_mov_b32 s4, 0x2e755180
	;; [unrolled: 1-line block ×4, first 2 shown]
	v_fma_f64 v[2:3], v[10:11], v[2:3], s[2:3]
	s_mov_b32 s2, 0x3a3a91a0
	s_mov_b32 s6, 0xc7a001d8
	;; [unrolled: 1-line block ×4, first 2 shown]
	v_fma_f64 v[0:1], v[10:11], v[0:1], s[4:5]
	s_mov_b32 s4, 0x7b53cd06
	s_mov_b32 s5, 0xbd09a193
	s_delay_alu instid0(SALU_CYCLE_1)
	v_fma_f64 v[52:53], v[10:11], s[4:5], s[2:3]
	v_fma_f64 v[34:35], v[10:11], v[34:35], s[6:7]
	s_mov_b32 s2, 0x60872669
	s_mov_b32 s4, 0xc66f66ea
	s_mov_b32 s3, 0x3d74b47e
	s_mov_b32 s5, 0xbdbdc664
	v_fma_f64 v[48:49], v[10:11], v[48:49], s[2:3]
	v_fma_f64 v[14:15], v[10:11], v[14:15], s[4:5]
	s_mov_b32 s2, 0xdaac4360
	s_mov_b32 s4, 0xc922ff7d
	s_mov_b32 s3, 0x3e04e65f
	s_mov_b32 s5, 0x3d94f0af
	v_fma_f64 v[26:27], v[10:11], v[26:27], s[2:3]
	v_fma_f64 v[50:51], v[10:11], v[50:51], s[4:5]
	s_mov_b32 s2, 0x667b9cd1
	s_mov_b32 s4, 0x1c98dfa8
	s_mov_b32 s3, 0x3ddf5b76
	s_mov_b32 s5, 0x3e045ac2
	v_fma_f64 v[6:7], v[10:11], v[6:7], s[2:3]
	v_fma_f64 v[4:5], v[10:11], v[4:5], s[4:5]
	s_mov_b32 s2, 0xf8cf4e10
	s_mov_b32 s4, 0x26866ea3
	s_mov_b32 s3, 0x3e12e1a8
	s_mov_b32 s5, 0x3e0a0782
	v_fma_f64 v[2:3], v[10:11], v[2:3], s[2:3]
	s_mov_b32 s2, 0xa95d399e
	s_mov_b32 s3, 0xbd952de5
	v_fma_f64 v[0:1], v[10:11], v[0:1], s[4:5]
	s_mov_b32 s4, 0x13e51e0e
	s_mov_b32 s5, 0x3db03de1
	v_fma_f64 v[52:53], v[10:11], v[52:53], s[2:3]
	v_fma_f64 v[34:35], v[10:11], v[34:35], s[4:5]
	s_mov_b32 s2, 0xd5c8363b
	s_mov_b32 s4, 0x7b141dc
	s_mov_b32 s3, 0x3de7b782
	s_mov_b32 s5, 0xbe147434
	v_fma_f64 v[48:49], v[10:11], v[48:49], s[2:3]
	v_fma_f64 v[14:15], v[10:11], v[14:15], s[4:5]
	s_mov_b32 s2, 0xea5456b2
	s_mov_b32 s4, 0x78af78eb
	s_mov_b32 s3, 0x3e371ca5
	s_mov_b32 s5, 0xbdda3632
	v_fma_f64 v[26:27], v[10:11], v[26:27], s[2:3]
	v_fma_f64 v[50:51], v[10:11], v[50:51], s[4:5]
	s_mov_b32 s2, 0x55df584b
	s_mov_b32 s4, 0x41bf7da7
	s_mov_b32 s3, 0xbe1f5c77
	s_mov_b32 s5, 0xbe401d2e
	v_fma_f64 v[6:7], v[10:11], v[6:7], s[2:3]
	v_fma_f64 v[4:5], v[10:11], v[4:5], s[4:5]
	s_mov_b32 s2, 0x83383787
	s_mov_b32 s4, 0x632e2db
	s_mov_b32 s3, 0xbe48b48a
	s_mov_b32 s5, 0xbe3dc322
	v_fma_f64 v[2:3], v[10:11], v[2:3], s[2:3]
	s_mov_b32 s2, 0x7dd99203
	s_mov_b32 s3, 0x3de58836
	v_fma_f64 v[0:1], v[10:11], v[0:1], s[4:5]
	s_mov_b32 s4, 0x6b7bd0f9
	s_mov_b32 s5, 0x3e02c646
	;; [unrolled: 30-line block ×8, first 2 shown]
	v_fma_f64 v[0:1], v[10:11], v[52:53], s[2:3]
	v_fma_f64 v[2:3], v[10:11], v[34:35], s[4:5]
	s_mov_b32 s2, 0x2a78f2e4
	s_mov_b32 s4, 0x7abbe2f4
	s_mov_b32 s3, 0x3fdbcd1b
	s_mov_b32 s5, 0x3ff664ee
	v_fma_f64 v[4:5], v[10:11], v[48:49], s[2:3]
	v_fma_f64 v[6:7], v[10:11], v[14:15], s[4:5]
	s_mov_b32 s2, 0x860c711d
	s_mov_b32 s4, 0xc2171969
	s_mov_b32 s3, 0x401f9897
	s_mov_b32 s5, 0x3fc9bd93
	;; [unrolled: 6-line block ×4, first 2 shown]
	v_fma_f64 v[50:51], v[10:11], v[115:116], s[2:3]
	v_fma_f64 v[26:27], v[10:11], v[117:118], s[4:5]
.LBB0_30:
	s_or_b32 exec_lo, exec_lo, s0
                                        ; implicit-def: $vgpr10_vgpr11
.LBB0_31:
	s_and_not1_saveexec_b32 s0, s34
	s_cbranch_execz .LBB0_33
; %bb.32:
	v_add_f64 v[10:11], 0xc0080000, v[10:11]
	s_mov_b32 s2, 0x2909fdcd
	s_mov_b32 s4, 0x9c3330dc
	;; [unrolled: 1-line block ×8, first 2 shown]
	s_delay_alu instid0(VALU_DEP_1) | instskip(SKIP_4) | instid1(SALU_CYCLE_1)
	v_fma_f64 v[0:1], v[10:11], s[4:5], s[2:3]
	s_mov_b32 s2, 0x6bd48d15
	s_mov_b32 s4, 0xa978abcf
	;; [unrolled: 1-line block ×4, first 2 shown]
	v_fma_f64 v[2:3], v[10:11], s[4:5], s[2:3]
	s_mov_b32 s2, 0x659e5e5d
	s_mov_b32 s4, 0xf3f0bd7f
	;; [unrolled: 1-line block ×4, first 2 shown]
	s_delay_alu instid0(SALU_CYCLE_1) | instskip(SKIP_4) | instid1(VALU_DEP_3)
	v_fma_f64 v[4:5], v[10:11], s[4:5], s[2:3]
	s_mov_b32 s2, 0x26e92723
	s_mov_b32 s4, 0x54dbb876
	;; [unrolled: 1-line block ×4, first 2 shown]
	v_fma_f64 v[0:1], v[10:11], v[0:1], s[6:7]
	s_mov_b32 s6, 0x5e39078d
	s_mov_b32 s7, 0xbd9f98d6
	s_delay_alu instid0(VALU_DEP_3) | instskip(SKIP_2) | instid1(VALU_DEP_3)
	v_fma_f64 v[2:3], v[10:11], v[2:3], s[2:3]
	s_mov_b32 s2, 0xdcffd663
	s_mov_b32 s3, 0xbd62729a
	v_fma_f64 v[4:5], v[10:11], v[4:5], s[6:7]
	s_mov_b32 s6, 0xeb5d7b7e
	s_mov_b32 s7, 0xbd8113cf
	s_delay_alu instid0(SALU_CYCLE_1) | instskip(SKIP_2) | instid1(VALU_DEP_4)
	v_fma_f64 v[48:49], v[10:11], s[8:9], s[6:7]
	s_mov_b32 s6, 0x1244702b
	s_mov_b32 s7, 0xbd953f4a
	v_fma_f64 v[0:1], v[10:11], v[0:1], s[4:5]
	s_mov_b32 s4, 0x22fe45c5
	s_mov_b32 s5, 0x3d223612
	s_delay_alu instid0(SALU_CYCLE_1)
	v_fma_f64 v[6:7], v[10:11], s[4:5], s[2:3]
	s_mov_b32 s2, 0x8b205bfb
	s_mov_b32 s4, 0x72ab399a
	;; [unrolled: 1-line block ×4, first 2 shown]
	v_fma_f64 v[2:3], v[10:11], v[2:3], s[2:3]
	s_mov_b32 s2, 0x849afd6b
	s_mov_b32 s3, 0x3da1070b
	s_delay_alu instid0(VALU_DEP_3) | instskip(SKIP_2) | instid1(VALU_DEP_3)
	v_fma_f64 v[0:1], v[10:11], v[0:1], s[4:5]
	s_mov_b32 s4, 0xc8cabd83
	s_mov_b32 s5, 0x3ddad6c1
	v_fma_f64 v[6:7], v[10:11], v[6:7], s[2:3]
	v_fma_f64 v[4:5], v[10:11], v[4:5], s[4:5]
	s_mov_b32 s2, 0xb51ab691
	s_mov_b32 s4, 0x50edcfee
	;; [unrolled: 1-line block ×4, first 2 shown]
	s_delay_alu instid0(VALU_DEP_4) | instskip(SKIP_2) | instid1(VALU_DEP_4)
	v_fma_f64 v[2:3], v[10:11], v[2:3], s[2:3]
	s_mov_b32 s2, 0xd51bd4dd
	s_mov_b32 s3, 0x3d2ea8ae
	v_fma_f64 v[0:1], v[10:11], v[0:1], s[4:5]
	s_mov_b32 s4, 0xfaa5cf2a
	s_mov_b32 s5, 0x3d078978
	s_delay_alu instid0(SALU_CYCLE_1) | instskip(SKIP_4) | instid1(SALU_CYCLE_1)
	v_fma_f64 v[14:15], v[10:11], s[4:5], s[2:3]
	s_mov_b32 s2, 0x3caefba3
	s_mov_b32 s4, 0x4de85980
	;; [unrolled: 1-line block ×4, first 2 shown]
	v_fma_f64 v[26:27], v[10:11], s[4:5], s[2:3]
	s_mov_b32 s2, 0xcfb72bde
	s_mov_b32 s4, 0xf755955d
	;; [unrolled: 1-line block ×4, first 2 shown]
	s_delay_alu instid0(SALU_CYCLE_1)
	v_fma_f64 v[34:35], v[10:11], s[4:5], s[2:3]
	s_mov_b32 s2, 0xdc14464
	s_mov_b32 s4, 0xe05786a5
	;; [unrolled: 1-line block ×4, first 2 shown]
	v_fma_f64 v[6:7], v[10:11], v[6:7], s[2:3]
	v_fma_f64 v[4:5], v[10:11], v[4:5], s[4:5]
	s_mov_b32 s2, 0x7a1dc93c
	s_mov_b32 s4, 0x41bc716c
	;; [unrolled: 1-line block ×4, first 2 shown]
	v_fma_f64 v[2:3], v[10:11], v[2:3], s[2:3]
	s_mov_b32 s2, 0x1d9d4f9d
	s_mov_b32 s3, 0x3d6ca502
	v_fma_f64 v[0:1], v[10:11], v[0:1], s[4:5]
	s_mov_b32 s4, 0x55f799f6
	s_mov_b32 s5, 0xbd1d1111
	s_delay_alu instid0(SALU_CYCLE_1)
	v_fma_f64 v[50:51], v[10:11], s[4:5], s[2:3]
	v_fma_f64 v[14:15], v[10:11], v[14:15], s[6:7]
	s_mov_b32 s2, 0xf2dd7a38
	s_mov_b32 s4, 0xff9e1984
	s_mov_b32 s6, 0x3637761
	s_mov_b32 s3, 0x3db44f52
	s_mov_b32 s5, 0xbdbdc670
	s_mov_b32 s7, 0xbd8fc79d
	v_fma_f64 v[26:27], v[10:11], v[26:27], s[2:3]
	v_fma_f64 v[52:53], v[10:11], s[6:7], s[4:5]
	s_mov_b32 s2, 0xfd18807a
	s_mov_b32 s4, 0x2c71e7eb
	s_mov_b32 s3, 0xbdd82007
	s_mov_b32 s5, 0x3dc3296c
	v_fma_f64 v[34:35], v[10:11], v[34:35], s[2:3]
	v_fma_f64 v[48:49], v[10:11], v[48:49], s[4:5]
	s_mov_b32 s2, 0xd588a416
	s_mov_b32 s4, 0x3353bd0
	s_mov_b32 s3, 0x3e1bbfe4
	s_mov_b32 s5, 0x3e4fa07f
	v_fma_f64 v[6:7], v[10:11], v[6:7], s[2:3]
	v_fma_f64 v[4:5], v[10:11], v[4:5], s[4:5]
	s_mov_b32 s2, 0x9d5391e1
	s_mov_b32 s4, 0x3d0d42f8
	s_mov_b32 s3, 0x3e67f976
	s_mov_b32 s5, 0x3e6742e4
	v_fma_f64 v[2:3], v[10:11], v[2:3], s[2:3]
	s_mov_b32 s2, 0x76cc3729
	s_mov_b32 s3, 0xbdb73ecc
	v_fma_f64 v[0:1], v[10:11], v[0:1], s[4:5]
	s_mov_b32 s4, 0xa23aa789
	s_mov_b32 s5, 0x3ddf3e6b
	v_fma_f64 v[50:51], v[10:11], v[50:51], s[2:3]
	v_fma_f64 v[14:15], v[10:11], v[14:15], s[4:5]
	s_mov_b32 s2, 0x4791187d
	s_mov_b32 s4, 0x2a4a31b
	s_mov_b32 s3, 0xbdf74d13
	s_mov_b32 s5, 0x3e0e5da0
	v_fma_f64 v[26:27], v[10:11], v[26:27], s[2:3]
	v_fma_f64 v[52:53], v[10:11], v[52:53], s[4:5]
	s_mov_b32 s2, 0x10f96f47
	s_mov_b32 s4, 0xbd33a0f0
	s_mov_b32 s3, 0xbe241fe9
	s_mov_b32 s5, 0xbe0591be
	v_fma_f64 v[34:35], v[10:11], v[34:35], s[2:3]
	v_fma_f64 v[48:49], v[10:11], v[48:49], s[4:5]
	s_mov_b32 s2, 0xc94c3bd0
	s_mov_b32 s4, 0x4564d772
	s_mov_b32 s3, 0xbe57230a
	s_mov_b32 s5, 0xbe85a1ee
	v_fma_f64 v[6:7], v[10:11], v[6:7], s[2:3]
	v_fma_f64 v[4:5], v[10:11], v[4:5], s[4:5]
	s_mov_b32 s2, 0xbd5b22e9
	s_mov_b32 s4, 0xddb913c3
	s_mov_b32 s3, 0xbe9c9f05
	s_mov_b32 s5, 0xbe99ae46
	v_fma_f64 v[2:3], v[10:11], v[2:3], s[2:3]
	s_mov_b32 s2, 0x178a4465
	s_mov_b32 s3, 0x3e018471
	v_fma_f64 v[0:1], v[10:11], v[0:1], s[4:5]
	s_mov_b32 s4, 0x8b5ed64a
	s_mov_b32 s5, 0xbe12f915
	v_fma_f64 v[50:51], v[10:11], v[50:51], s[2:3]
	v_fma_f64 v[14:15], v[10:11], v[14:15], s[4:5]
	s_mov_b32 s2, 0xa2cead72
	s_mov_b32 s4, 0x9b5c090c
	s_mov_b32 s3, 0xbe29bb3e
	s_mov_b32 s5, 0x3e511723
	;; [unrolled: 30-line block ×8, first 2 shown]
	v_fma_f64 v[4:5], v[10:11], v[26:27], s[2:3]
	v_fma_f64 v[6:7], v[10:11], v[52:53], s[4:5]
	s_mov_b32 s2, 0xda1d25dd
	s_mov_b32 s4, 0x30756ab5
	s_mov_b32 s3, 0x402b2415
	s_mov_b32 s5, 0x3fcfaa40
	v_fma_f64 v[14:15], v[10:11], v[34:35], s[2:3]
	v_fma_f64 v[52:53], v[10:11], v[48:49], s[4:5]
	s_mov_b32 s2, 0xaedba2c5
	s_mov_b32 s4, 0xdfd40843
	s_mov_b32 s3, 0x3fc47572
	s_mov_b32 s5, 0x3fb1cc23
	v_fma_f64 v[54:55], v[10:11], v[54:55], s[2:3]
	v_fma_f64 v[48:49], v[10:11], v[113:114], s[4:5]
	s_mov_b32 s2, 0x9b6b9af8
	s_mov_b32 s4, 0x3d3605be
	s_mov_b32 s3, 0x3f96c4de
	s_mov_b32 s5, 0x3f75fe79
	v_fma_f64 v[50:51], v[10:11], v[115:116], s[2:3]
	v_fma_f64 v[26:27], v[10:11], v[117:118], s[4:5]
.LBB0_33:
	s_or_b32 exec_lo, exec_lo, s0
                                        ; implicit-def: $vgpr10_vgpr11
.LBB0_34:
	s_and_not1_saveexec_b32 s0, s31
	s_cbranch_execz .LBB0_36
; %bb.35:
	s_mov_b32 s2, 0x9e8a7b7e
	s_mov_b32 s4, 0xe73504c5
	s_mov_b32 s3, 0xbe715ed2
	s_mov_b32 s5, 0x3e31978a
	s_mov_b32 s6, 0x745b8191
	v_fma_f64 v[0:1], v[10:11], s[4:5], s[2:3]
	s_mov_b32 s2, 0xb77b59f1
	s_mov_b32 s4, 0x47f4f67f
	s_mov_b32 s3, 0x3e83ca6b
	s_mov_b32 s5, 0xbe443a71
	s_mov_b32 s7, 0x3ea6a0a8
	v_fma_f64 v[2:3], v[10:11], s[4:5], s[2:3]
	;; [unrolled: 6-line block ×4, first 2 shown]
	s_mov_b32 s2, 0x14e7bfe6
	s_mov_b32 s4, 0xc8379b4f
	;; [unrolled: 1-line block ×4, first 2 shown]
	s_delay_alu instid0(VALU_DEP_4)
	v_fma_f64 v[0:1], v[10:11], v[0:1], s[6:7]
	s_mov_b32 s6, 0xed4ebe4d
	s_mov_b32 s7, 0xbeba6ab9
	s_delay_alu instid0(VALU_DEP_4) | instid1(SALU_CYCLE_1)
	v_fma_f64 v[2:3], v[10:11], v[2:3], s[6:7]
	s_mov_b32 s6, 0xd76cbac1
	s_mov_b32 s7, 0xbe33a3b5
	s_delay_alu instid0(SALU_CYCLE_1)
	v_fma_f64 v[26:27], v[10:11], s[8:9], s[6:7]
	s_mov_b32 s6, 0x389b40bf
	v_fma_f64 v[4:5], v[10:11], v[4:5], s[2:3]
	s_mov_b32 s2, 0xceeef7be
	s_mov_b32 s3, 0x3e14f04c
	;; [unrolled: 1-line block ×3, first 2 shown]
	s_delay_alu instid0(VALU_DEP_4) | instskip(SKIP_2) | instid1(SALU_CYCLE_1)
	v_fma_f64 v[0:1], v[10:11], v[0:1], s[4:5]
	s_mov_b32 s4, 0x4c4b2782
	s_mov_b32 s5, 0xbdc88e73
	v_fma_f64 v[14:15], v[10:11], s[4:5], s[2:3]
	s_mov_b32 s2, 0xe8962c67
	s_mov_b32 s4, 0x6a8f6b14
	;; [unrolled: 1-line block ×4, first 2 shown]
	s_delay_alu instid0(SALU_CYCLE_1)
	v_fma_f64 v[34:35], v[10:11], s[4:5], s[2:3]
	s_mov_b32 s2, 0xaa862d0d
	s_mov_b32 s4, 0x3fd6426b
	;; [unrolled: 1-line block ×4, first 2 shown]
	v_fma_f64 v[6:7], v[10:11], v[6:7], s[2:3]
	v_fma_f64 v[2:3], v[10:11], v[2:3], s[4:5]
	s_mov_b32 s2, 0x337cc744
	s_mov_b32 s4, 0xc5db9e3d
	s_mov_b32 s3, 0x3f07c237
	s_mov_b32 s5, 0x3f07c2b4
	v_fma_f64 v[4:5], v[10:11], v[4:5], s[2:3]
	s_mov_b32 s2, 0x3589962d
	s_mov_b32 s3, 0xbe5c3c9a
	v_fma_f64 v[0:1], v[10:11], v[0:1], s[4:5]
	s_mov_b32 s4, 0xbf3f1436
	s_mov_b32 s5, 0x3e5aaa50
	v_fma_f64 v[14:15], v[10:11], v[14:15], s[2:3]
	v_fma_f64 v[26:27], v[10:11], v[26:27], s[4:5]
	s_mov_b32 s2, 0x58e0483e
	s_mov_b32 s4, 0xdc0b9945
	;; [unrolled: 1-line block ×4, first 2 shown]
	v_fma_f64 v[34:35], v[10:11], v[34:35], s[6:7]
	v_fma_f64 v[48:49], v[10:11], s[4:5], s[2:3]
	s_mov_b32 s2, 0xb8461e0b
	s_mov_b32 s4, 0x993fd021
	;; [unrolled: 1-line block ×5, first 2 shown]
	v_fma_f64 v[50:51], v[10:11], s[4:5], s[2:3]
	s_mov_b32 s2, 0xeec59c68
	s_mov_b32 s4, 0x38fc636d
	s_mov_b32 s3, 0xbef1436c
	s_mov_b32 s5, 0xbf1f287b
	v_fma_f64 v[6:7], v[10:11], v[6:7], s[2:3]
	v_fma_f64 v[2:3], v[10:11], v[2:3], s[4:5]
	s_mov_b32 s2, 0xb66a3908
	s_mov_b32 s4, 0xfcd1fde6
	;; [unrolled: 1-line block ×4, first 2 shown]
	v_fma_f64 v[4:5], v[10:11], v[4:5], s[2:3]
	s_mov_b32 s2, 0x806de6de
	s_mov_b32 s3, 0x3ea148ba
	s_mov_b32 s7, 0xbe90ae9a
	v_fma_f64 v[0:1], v[10:11], v[0:1], s[4:5]
	s_mov_b32 s4, 0xf7160490
	s_mov_b32 s5, 0x3eb9493b
	v_fma_f64 v[14:15], v[10:11], v[14:15], s[2:3]
	v_fma_f64 v[26:27], v[10:11], v[26:27], s[4:5]
	s_mov_b32 s2, 0x426d062
	s_mov_b32 s4, 0xc6786043
	s_mov_b32 s3, 0xbec7358f
	s_mov_b32 s5, 0xbed23938
	v_fma_f64 v[48:49], v[10:11], v[48:49], s[2:3]
	v_fma_f64 v[52:53], v[10:11], s[6:7], s[4:5]
	s_mov_b32 s2, 0x90762e0f
	s_mov_b32 s4, 0xda4c23fe
	s_mov_b32 s3, 0x3ec981f8
	s_mov_b32 s5, 0x3ee169b9
	v_fma_f64 v[50:51], v[10:11], v[50:51], s[2:3]
	v_fma_f64 v[34:35], v[10:11], v[34:35], s[4:5]
	s_mov_b32 s2, 0xe2a6b054
	s_mov_b32 s4, 0xccaccc5f
	s_mov_b32 s3, 0x3f242a2a
	s_mov_b32 s5, 0x3f4bf955
	v_fma_f64 v[6:7], v[10:11], v[6:7], s[2:3]
	v_fma_f64 v[2:3], v[10:11], v[2:3], s[4:5]
	s_mov_b32 s2, 0xd4cebbe1
	s_mov_b32 s4, 0xbb48abb0
	s_mov_b32 s3, 0x3f6007bf
	s_mov_b32 s5, 0x3f5b25c8
	v_fma_f64 v[4:5], v[10:11], v[4:5], s[2:3]
	s_mov_b32 s2, 0x43a5c722
	s_mov_b32 s3, 0xbee375ce
	v_fma_f64 v[0:1], v[10:11], v[0:1], s[4:5]
	s_mov_b32 s4, 0x903a3c3a
	s_mov_b32 s5, 0xbf0fd69f
	v_fma_f64 v[14:15], v[10:11], v[14:15], s[2:3]
	v_fma_f64 v[26:27], v[10:11], v[26:27], s[4:5]
	s_mov_b32 s2, 0xe1d683d5
	s_mov_b32 s4, 0x7f95e8e0
	s_mov_b32 s3, 0xbf140e9b
	s_mov_b32 s5, 0xbea9083f
	v_fma_f64 v[48:49], v[10:11], v[48:49], s[2:3]
	v_fma_f64 v[52:53], v[10:11], v[52:53], s[4:5]
	s_mov_b32 s2, 0x231b8ea3
	s_mov_b32 s4, 0x57465081
	s_mov_b32 s3, 0x3f1bbda8
	s_mov_b32 s5, 0xbf1dadf5
	v_fma_f64 v[50:51], v[10:11], v[50:51], s[2:3]
	v_fma_f64 v[34:35], v[10:11], v[34:35], s[4:5]
	s_mov_b32 s2, 0x2f9303bd
	s_mov_b32 s4, 0x6d3645be
	s_mov_b32 s3, 0xbf551c50
	s_mov_b32 s5, 0xbf756ac5
	v_fma_f64 v[6:7], v[10:11], v[6:7], s[2:3]
	v_fma_f64 v[2:3], v[10:11], v[2:3], s[4:5]
	s_mov_b32 s2, 0x4f318c80
	s_mov_b32 s4, 0x2c7348a0
	s_mov_b32 s3, 0xbf840383
	s_mov_b32 s5, 0xbf7e5680
	v_fma_f64 v[4:5], v[10:11], v[4:5], s[2:3]
	s_mov_b32 s2, 0x5edbfbbb
	s_mov_b32 s3, 0x3f23e55d
	;; [unrolled: 30-line block ×4, first 2 shown]
	v_fma_f64 v[117:118], v[10:11], v[0:1], s[4:5]
	s_mov_b32 s4, 0x911e2d9f
	s_mov_b32 s5, 0x3fcd9a4f
	v_fma_f64 v[0:1], v[10:11], v[14:15], s[2:3]
	v_fma_f64 v[2:3], v[10:11], v[26:27], s[4:5]
	s_mov_b32 s2, 0xedde43db
	s_mov_b32 s4, 0x4be77329
	s_mov_b32 s3, 0x3feb6f60
	s_mov_b32 s5, 0x4007c9ca
	v_fma_f64 v[4:5], v[10:11], v[48:49], s[2:3]
	v_fma_f64 v[6:7], v[10:11], v[52:53], s[4:5]
	s_mov_b32 s2, 0xa0cc44f7
	s_mov_b32 s4, 0x7014d6a9
	;; [unrolled: 6-line block ×4, first 2 shown]
	s_mov_b32 s3, 0x3fc32138
	s_mov_b32 s5, 0x3fb1115f
	v_fma_f64 v[50:51], v[10:11], v[115:116], s[2:3]
	v_fma_f64 v[26:27], v[10:11], v[117:118], s[4:5]
.LBB0_36:
	s_or_b32 exec_lo, exec_lo, s0
                                        ; implicit-def: $vgpr10_vgpr11
.LBB0_37:
	s_and_not1_saveexec_b32 s0, s30
	s_cbranch_execz .LBB0_39
; %bb.38:
	s_mov_b32 s2, 0x96777b17
	s_mov_b32 s4, 0x97367277
	s_mov_b32 s6, 0x911e2d57
	s_mov_b32 s8, 0x7ab464a1
	s_mov_b32 s3, 0x3f9735bc
	s_mov_b32 s5, 0xbf61af09
	s_mov_b32 s7, 0x3fcd9a4f
	s_mov_b32 s9, 0xbf968df3
	v_fma_f64 v[0:1], v[10:11], s[4:5], s[2:3]
	v_fma_f64 v[2:3], v[10:11], s[8:9], s[6:7]
	s_mov_b32 s2, 0xedde45dc
	s_mov_b32 s4, 0x478ad91d
	s_mov_b32 s6, 0x4be77340
	s_mov_b32 s8, 0x15450605
	s_mov_b32 s3, 0x3feb6f60
	s_mov_b32 s5, 0xbfb4e725
	s_mov_b32 s7, 0x4007c9ca
	s_mov_b32 s9, 0xbfd21fd7
	v_fma_f64 v[4:5], v[10:11], s[4:5], s[2:3]
	v_fma_f64 v[6:7], v[10:11], s[8:9], s[6:7]
	;; [unrolled: 10-line block ×5, first 2 shown]
.LBB0_39:
	s_or_b32 exec_lo, exec_lo, s0
	s_clause 0x5
	scratch_store_b128 off, v[0:3], s33 offset:304
	scratch_store_b128 off, v[4:7], s33 offset:320
	;; [unrolled: 1-line block ×4, first 2 shown]
	scratch_store_b64 off, v[14:15], s33 offset:336
	scratch_store_b64 off, v[26:27], s33 offset:400
.LBB0_40:
	s_or_b32 exec_lo, exec_lo, vcc_hi
                                        ; implicit-def: $vgpr10_vgpr11
.LBB0_41:
	s_and_not1_saveexec_b32 s29, s29
	s_cbranch_execz .LBB0_81
; %bb.42:
	s_mov_b32 vcc_hi, exec_lo
	v_cmpx_eq_u32_e32 3, v107
	s_cbranch_execz .LBB0_80
; %bb.43:
	s_mov_b32 s0, 0xf40d8376
	s_mov_b32 s1, 0x3e9421f5
                                        ; implicit-def: $vgpr50_vgpr51
                                        ; implicit-def: $vgpr54_vgpr55
                                        ; implicit-def: $vgpr6_vgpr7
                                        ; implicit-def: $vgpr2_vgpr3
	s_delay_alu instid0(SALU_CYCLE_1) | instskip(SKIP_1) | instid1(SALU_CYCLE_1)
	v_cmp_ge_f64_e32 vcc_lo, s[0:1], v[10:11]
	s_and_saveexec_b32 s0, vcc_lo
	s_xor_b32 s0, exec_lo, s0
	s_cbranch_execz .LBB0_45
; %bb.44:
	s_mov_b32 s2, 0xe05c2661
	s_mov_b32 s4, 0xb50b683f
	s_mov_b32 s6, 0xc54950d9
	s_mov_b32 s8, 0x14031eb8
	s_mov_b32 s3, 0x3fa1d3e9
	s_mov_b32 s5, 0xbf70c772
	s_mov_b32 s7, 0x3fd86b98
	s_mov_b32 s9, 0xbfa6fbdb
	v_fma_f64 v[0:1], v[10:11], s[4:5], s[2:3]
	v_fma_f64 v[2:3], v[10:11], s[8:9], s[6:7]
	s_mov_b32 s2, 0xb516dd81
	s_mov_b32 s4, 0xf5c7ac84
	s_mov_b32 s6, 0xf9527da2
	s_mov_b32 s8, 0x904d2a98
	s_mov_b32 s3, 0x3ffbcc02
	s_mov_b32 s5, 0xbfca296b
	s_mov_b32 s7, 0x4027b14e
	s_mov_b32 s9, 0xbff64c86
	v_fma_f64 v[4:5], v[10:11], s[4:5], s[2:3]
	v_fma_f64 v[6:7], v[10:11], s[8:9], s[6:7]
	;; [unrolled: 10-line block ×4, first 2 shown]
                                        ; implicit-def: $vgpr10_vgpr11
.LBB0_45:
	s_and_not1_saveexec_b32 s30, s0
	s_cbranch_execz .LBB0_79
; %bb.46:
	s_mov_b32 s0, exec_lo
                                        ; implicit-def: $vgpr50_vgpr51
                                        ; implicit-def: $vgpr54_vgpr55
                                        ; implicit-def: $vgpr6_vgpr7
                                        ; implicit-def: $vgpr2_vgpr3
	v_cmpx_ge_f64_e32 1.0, v[10:11]
	s_xor_b32 s0, exec_lo, s0
	s_cbranch_execz .LBB0_48
; %bb.47:
	s_mov_b32 s2, 0x68d3e601
	s_mov_b32 s4, 0x6b3dbd1d
	;; [unrolled: 1-line block ×5, first 2 shown]
	v_fma_f64 v[0:1], v[10:11], s[4:5], s[2:3]
	s_mov_b32 s2, 0xf147f33e
	s_mov_b32 s4, 0x22c493a0
	;; [unrolled: 1-line block ×5, first 2 shown]
	v_fma_f64 v[2:3], v[10:11], s[4:5], s[2:3]
	s_mov_b32 s2, 0x4518e97f
	s_mov_b32 s4, 0x4f804dda
	;; [unrolled: 1-line block ×4, first 2 shown]
	s_delay_alu instid0(SALU_CYCLE_1) | instskip(SKIP_4) | instid1(VALU_DEP_3)
	v_fma_f64 v[4:5], v[10:11], s[4:5], s[2:3]
	s_mov_b32 s2, 0x53b996de
	s_mov_b32 s3, 0xbea82924
	s_mov_b32 s4, 0x502c7011
	s_mov_b32 s5, 0xbedf21b5
	v_fma_f64 v[0:1], v[10:11], v[0:1], s[6:7]
	s_mov_b32 s6, 0xf8c220a0
	s_mov_b32 s7, 0x3edd1966
	s_delay_alu instid0(VALU_DEP_3)
	v_fma_f64 v[2:3], v[10:11], v[2:3], s[2:3]
	s_mov_b32 s2, 0x778e679e
	s_mov_b32 s3, 0xbed50ab3
	s_delay_alu instid0(VALU_DEP_3) | instid1(SALU_CYCLE_1)
	v_fma_f64 v[4:5], v[10:11], v[4:5], s[2:3]
	s_mov_b32 s2, 0x76bd8a7f
	s_mov_b32 s3, 0x3e3652e2
	s_delay_alu instid0(VALU_DEP_3) | instskip(SKIP_2) | instid1(SALU_CYCLE_1)
	v_fma_f64 v[0:1], v[10:11], v[0:1], s[4:5]
	s_mov_b32 s4, 0x9d85fffc
	s_mov_b32 s5, 0xbdead7d8
	v_fma_f64 v[6:7], v[10:11], s[4:5], s[2:3]
	s_mov_b32 s2, 0xefdfc5fa
	s_mov_b32 s4, 0x61bd7af1
	;; [unrolled: 1-line block ×4, first 2 shown]
	s_delay_alu instid0(VALU_DEP_4)
	v_fma_f64 v[2:3], v[10:11], v[2:3], s[6:7]
	v_fma_f64 v[14:15], v[10:11], s[4:5], s[2:3]
	s_mov_b32 s2, 0x71f0659f
	s_mov_b32 s4, 0x7f5727f9
	s_mov_b32 s3, 0x3e893c2a
	s_mov_b32 s5, 0xbe489ee9
	s_mov_b32 s6, 0xe5438f94
	v_fma_f64 v[26:27], v[10:11], s[4:5], s[2:3]
	s_mov_b32 s2, 0xb75b6a64
	s_mov_b32 s4, 0x555d215d
	;; [unrolled: 1-line block ×4, first 2 shown]
	v_fma_f64 v[4:5], v[10:11], v[4:5], s[2:3]
	s_mov_b32 s2, 0x70702f77
	s_mov_b32 s3, 0xbe7b50a6
	;; [unrolled: 1-line block ×3, first 2 shown]
	v_fma_f64 v[0:1], v[10:11], v[0:1], s[4:5]
	s_mov_b32 s4, 0xd7c8d099
	s_mov_b32 s5, 0x3e94a43c
	v_fma_f64 v[6:7], v[10:11], v[6:7], s[2:3]
	v_fma_f64 v[34:35], v[10:11], s[6:7], s[4:5]
	s_mov_b32 s2, 0xf734861
	s_mov_b32 s4, 0xde201477
	;; [unrolled: 1-line block ×6, first 2 shown]
	v_fma_f64 v[14:15], v[10:11], v[14:15], s[2:3]
	v_fma_f64 v[48:49], v[10:11], s[6:7], s[4:5]
	s_mov_b32 s2, 0x9d2f3618
	s_mov_b32 s4, 0x239bc187
	s_mov_b32 s3, 0xbec39234
	s_mov_b32 s5, 0xbf0fbd1b
	v_fma_f64 v[26:27], v[10:11], v[26:27], s[2:3]
	v_fma_f64 v[2:3], v[10:11], v[2:3], s[4:5]
	s_mov_b32 s2, 0xacfee078
	s_mov_b32 s4, 0x3c6a4ac7
	s_mov_b32 s3, 0xbf34300e
	s_mov_b32 s5, 0xbf3956d6
	v_fma_f64 v[4:5], v[10:11], v[4:5], s[2:3]
	s_mov_b32 s2, 0x81da6a55
	s_mov_b32 s3, 0x3ebceb0f
	v_fma_f64 v[0:1], v[10:11], v[0:1], s[4:5]
	s_mov_b32 s4, 0x32168329
	s_mov_b32 s5, 0x3eb552d3
	v_fma_f64 v[6:7], v[10:11], v[6:7], s[2:3]
	v_fma_f64 v[34:35], v[10:11], v[34:35], s[4:5]
	s_mov_b32 s2, 0x8d7f7a06
	s_mov_b32 s4, 0x8b4cb716
	s_mov_b32 s3, 0xbee7d543
	s_mov_b32 s5, 0x3eccc30b
	v_fma_f64 v[14:15], v[10:11], v[14:15], s[2:3]
	v_fma_f64 v[48:49], v[10:11], v[48:49], s[4:5]
	s_mov_b32 s2, 0x986bedbd
	s_mov_b32 s4, 0x477fa72
	s_mov_b32 s3, 0x3efc31b1
	s_mov_b32 s5, 0x3f3f1474
	v_fma_f64 v[26:27], v[10:11], v[26:27], s[2:3]
	v_fma_f64 v[2:3], v[10:11], v[2:3], s[4:5]
	s_mov_b32 s2, 0x40349659
	s_mov_b32 s4, 0x1c8c06c7
	s_mov_b32 s3, 0x3f5fdb10
	s_mov_b32 s5, 0x3f61e48c
	v_fma_f64 v[4:5], v[10:11], v[4:5], s[2:3]
	s_mov_b32 s2, 0xf2203ca2
	s_mov_b32 s3, 0xbefb63a0
	v_fma_f64 v[0:1], v[10:11], v[0:1], s[4:5]
	s_mov_b32 s4, 0x3234424f
	s_mov_b32 s5, 0xbf2293aa
	v_fma_f64 v[6:7], v[10:11], v[6:7], s[2:3]
	v_fma_f64 v[34:35], v[10:11], v[34:35], s[4:5]
	s_mov_b32 s2, 0xe3f849c1
	s_mov_b32 s4, 0x6be0ad34
	s_mov_b32 s3, 0xbf14bfff
	s_mov_b32 s5, 0x3f2601d0
	;; [unrolled: 24-line block ×5, first 2 shown]
	v_fma_f64 v[4:5], v[10:11], v[14:15], s[2:3]
	v_fma_f64 v[6:7], v[10:11], v[48:49], s[4:5]
	s_mov_b32 s2, 0xb19915d
	s_mov_b32 s4, 0xa2555fe
	s_mov_b32 s3, 0x3fd73636
	s_mov_b32 s5, 0x3fd413c5
	v_fma_f64 v[52:53], v[10:11], v[26:27], s[2:3]
	v_fma_f64 v[54:55], v[10:11], v[50:51], s[4:5]
	s_mov_b32 s2, 0x531d2ad0
	s_mov_b32 s4, 0x4ca0361
	;; [unrolled: 1-line block ×4, first 2 shown]
	v_fma_f64 v[48:49], v[10:11], v[113:114], s[2:3]
	v_fma_f64 v[50:51], v[10:11], v[115:116], s[4:5]
                                        ; implicit-def: $vgpr10_vgpr11
.LBB0_48:
	s_and_not1_saveexec_b32 s31, s0
	s_cbranch_execz .LBB0_78
; %bb.49:
	s_mov_b32 s0, exec_lo
                                        ; implicit-def: $vgpr50_vgpr51
                                        ; implicit-def: $vgpr54_vgpr55
                                        ; implicit-def: $vgpr6_vgpr7
                                        ; implicit-def: $vgpr2_vgpr3
	v_cmpx_ge_f64_e32 0x40140000, v[10:11]
	s_xor_b32 s0, exec_lo, s0
	s_cbranch_execz .LBB0_51
; %bb.50:
	v_add_f64 v[10:11], 0xc0080000, v[10:11]
	s_mov_b32 s2, 0xcdf599fb
	s_mov_b32 s4, 0xaf46b5bf
	;; [unrolled: 1-line block ×8, first 2 shown]
	s_delay_alu instid0(VALU_DEP_1) | instskip(SKIP_4) | instid1(SALU_CYCLE_1)
	v_fma_f64 v[0:1], v[10:11], s[4:5], s[2:3]
	s_mov_b32 s2, 0xe80b5ba2
	s_mov_b32 s4, 0x7c85c3be
	;; [unrolled: 1-line block ×4, first 2 shown]
	v_fma_f64 v[2:3], v[10:11], s[4:5], s[2:3]
	s_mov_b32 s2, 0x7464b23a
	s_mov_b32 s4, 0xb929d25
	;; [unrolled: 1-line block ×4, first 2 shown]
	s_delay_alu instid0(SALU_CYCLE_1) | instskip(SKIP_4) | instid1(VALU_DEP_3)
	v_fma_f64 v[4:5], v[10:11], s[4:5], s[2:3]
	s_mov_b32 s2, 0xd63d76dd
	s_mov_b32 s4, 0x3d18a4de
	;; [unrolled: 1-line block ×4, first 2 shown]
	v_fma_f64 v[0:1], v[10:11], v[0:1], s[6:7]
	s_mov_b32 s6, 0xbbb72df0
	s_mov_b32 s7, 0x3dc7c28b
	s_delay_alu instid0(VALU_DEP_3)
	v_fma_f64 v[2:3], v[10:11], v[2:3], s[2:3]
	s_mov_b32 s2, 0xd4be3196
	s_mov_b32 s3, 0xbd8b6930
	s_delay_alu instid0(VALU_DEP_3) | instid1(SALU_CYCLE_1)
	v_fma_f64 v[4:5], v[10:11], v[4:5], s[2:3]
	s_mov_b32 s2, 0x228c4445
	s_mov_b32 s3, 0xbdbca4ce
	s_delay_alu instid0(VALU_DEP_3) | instskip(SKIP_2) | instid1(VALU_DEP_3)
	v_fma_f64 v[0:1], v[10:11], v[0:1], s[4:5]
	s_mov_b32 s4, 0xb203580f
	s_mov_b32 s5, 0xbdc6e04f
	v_fma_f64 v[2:3], v[10:11], v[2:3], s[2:3]
	s_mov_b32 s2, 0xc77df6e1
	s_mov_b32 s3, 0x3d6ab17c
	s_delay_alu instid0(VALU_DEP_3) | instskip(SKIP_2) | instid1(SALU_CYCLE_1)
	v_fma_f64 v[4:5], v[10:11], v[4:5], s[6:7]
	s_mov_b32 s6, 0xe497324a
	s_mov_b32 s7, 0xbd843604
	v_fma_f64 v[26:27], v[10:11], s[8:9], s[6:7]
	s_mov_b32 s6, 0xf7f20262
	s_mov_b32 s8, 0x64d1b2d2
	;; [unrolled: 1-line block ×4, first 2 shown]
	s_delay_alu instid0(SALU_CYCLE_1) | instskip(SKIP_3) | instid1(SALU_CYCLE_1)
	v_fma_f64 v[48:49], v[10:11], s[8:9], s[6:7]
	v_fma_f64 v[0:1], v[10:11], v[0:1], s[4:5]
	s_mov_b32 s4, 0xbc075ac8
	s_mov_b32 s5, 0xbd2a38e9
	v_fma_f64 v[6:7], v[10:11], s[4:5], s[2:3]
	s_mov_b32 s2, 0x64396fcc
	s_mov_b32 s4, 0xca07101
	;; [unrolled: 1-line block ×4, first 2 shown]
	v_fma_f64 v[2:3], v[10:11], v[2:3], s[2:3]
	s_mov_b32 s2, 0x16f3fad2
	s_mov_b32 s3, 0xbd42c1ab
	s_delay_alu instid0(VALU_DEP_3) | instskip(SKIP_2) | instid1(SALU_CYCLE_1)
	v_fma_f64 v[0:1], v[10:11], v[0:1], s[4:5]
	s_mov_b32 s4, 0x73ef1aa8
	s_mov_b32 s5, 0xbcdac39c
	v_fma_f64 v[14:15], v[10:11], s[4:5], s[2:3]
	s_mov_b32 s2, 0xf0371c25
	s_mov_b32 s4, 0x770ce8c1
	;; [unrolled: 1-line block ×4, first 2 shown]
	s_delay_alu instid0(SALU_CYCLE_1)
	v_fma_f64 v[34:35], v[10:11], s[4:5], s[2:3]
	s_mov_b32 s2, 0xa56bea5f
	s_mov_b32 s4, 0xd8d5acb0
	s_mov_b32 s3, 0xbdaa16c4
	s_mov_b32 s5, 0xbe037e42
	v_fma_f64 v[6:7], v[10:11], v[6:7], s[2:3]
	v_fma_f64 v[4:5], v[10:11], v[4:5], s[4:5]
	s_mov_b32 s2, 0x3947d825
	s_mov_b32 s4, 0x202f2840
	s_mov_b32 s3, 0xbe309802
	s_mov_b32 s5, 0xbe37d0d8
	v_fma_f64 v[2:3], v[10:11], v[2:3], s[2:3]
	s_mov_b32 s2, 0xe14cfada
	s_mov_b32 s3, 0x3d91e4c5
	v_fma_f64 v[0:1], v[10:11], v[0:1], s[4:5]
	s_mov_b32 s4, 0x6b5bd8d9
	s_mov_b32 s5, 0xbd90cea0
	v_fma_f64 v[14:15], v[10:11], v[14:15], s[2:3]
	v_fma_f64 v[26:27], v[10:11], v[26:27], s[4:5]
	s_mov_b32 s2, 0x3a3593bb
	s_mov_b32 s4, 0xa98f2b0e
	s_mov_b32 s3, 0xbde45f4d
	s_mov_b32 s5, 0x3e09ea5a
	v_fma_f64 v[34:35], v[10:11], v[34:35], s[2:3]
	v_fma_f64 v[48:49], v[10:11], v[48:49], s[4:5]
	s_mov_b32 s2, 0xfb571d3b
	s_mov_b32 s4, 0xfe356336
	s_mov_b32 s3, 0x3de99881
	s_mov_b32 s5, 0x3e3e1780
	v_fma_f64 v[6:7], v[10:11], v[6:7], s[2:3]
	v_fma_f64 v[4:5], v[10:11], v[4:5], s[4:5]
	s_mov_b32 s2, 0x3f85cd9e
	s_mov_b32 s4, 0xbe9add63
	s_mov_b32 s3, 0x3e66591d
	s_mov_b32 s5, 0x3e6dd18f
	v_fma_f64 v[2:3], v[10:11], v[2:3], s[2:3]
	s_mov_b32 s2, 0xe87f0a1f
	s_mov_b32 s3, 0xbdd93000
	v_fma_f64 v[0:1], v[10:11], v[0:1], s[4:5]
	s_mov_b32 s4, 0x5130e4c4
	s_mov_b32 s5, 0x3e07846b
	v_fma_f64 v[14:15], v[10:11], v[14:15], s[2:3]
	v_fma_f64 v[26:27], v[10:11], v[26:27], s[4:5]
	s_mov_b32 s2, 0xf29a7cc2
	s_mov_b32 s4, 0x34923fc0
	s_mov_b32 s3, 0xbe227fc8
	s_mov_b32 s5, 0xbe2302af
	v_fma_f64 v[34:35], v[10:11], v[34:35], s[2:3]
	;; [unrolled: 24-line block ×9, first 2 shown]
	v_fma_f64 v[6:7], v[10:11], v[48:49], s[4:5]
	s_mov_b32 s2, 0x12c49f80
	s_mov_b32 s4, 0xee602011
	;; [unrolled: 1-line block ×4, first 2 shown]
	v_fma_f64 v[52:53], v[10:11], v[50:51], s[2:3]
	v_fma_f64 v[54:55], v[10:11], v[54:55], s[4:5]
	s_mov_b32 s2, 0xa5b47061
	s_mov_b32 s4, 0xf3bb9102
	;; [unrolled: 1-line block ×4, first 2 shown]
	v_fma_f64 v[48:49], v[10:11], v[113:114], s[2:3]
	v_fma_f64 v[50:51], v[10:11], v[115:116], s[4:5]
                                        ; implicit-def: $vgpr10_vgpr11
.LBB0_51:
	s_and_not1_saveexec_b32 s34, s0
	s_cbranch_execz .LBB0_77
; %bb.52:
	s_mov_b32 s0, exec_lo
                                        ; implicit-def: $vgpr50_vgpr51
                                        ; implicit-def: $vgpr54_vgpr55
                                        ; implicit-def: $vgpr6_vgpr7
                                        ; implicit-def: $vgpr2_vgpr3
	v_cmpx_ge_f64_e32 0x40240000, v[10:11]
	s_xor_b32 s0, exec_lo, s0
	s_cbranch_execz .LBB0_54
; %bb.53:
	v_add_f64 v[10:11], 0xc01e0000, v[10:11]
	s_mov_b32 s2, 0x403745f
	s_mov_b32 s4, 0xb3b9451b
	;; [unrolled: 1-line block ×8, first 2 shown]
	s_delay_alu instid0(VALU_DEP_1) | instskip(SKIP_4) | instid1(SALU_CYCLE_1)
	v_fma_f64 v[0:1], v[10:11], s[4:5], s[2:3]
	s_mov_b32 s2, 0xa7f481ca
	s_mov_b32 s4, 0x876af24e
	;; [unrolled: 1-line block ×4, first 2 shown]
	v_fma_f64 v[2:3], v[10:11], s[4:5], s[2:3]
	s_mov_b32 s2, 0x431b4ca0
	s_mov_b32 s4, 0x792055fd
	;; [unrolled: 1-line block ×4, first 2 shown]
	s_delay_alu instid0(SALU_CYCLE_1) | instskip(SKIP_4) | instid1(VALU_DEP_3)
	v_fma_f64 v[4:5], v[10:11], s[4:5], s[2:3]
	s_mov_b32 s2, 0xeded0231
	s_mov_b32 s4, 0x37a1331c
	;; [unrolled: 1-line block ×4, first 2 shown]
	v_fma_f64 v[0:1], v[10:11], v[0:1], s[6:7]
	s_mov_b32 s6, 0x6dff15b4
	s_mov_b32 s7, 0x3d9959b4
	s_delay_alu instid0(VALU_DEP_3) | instskip(SKIP_2) | instid1(VALU_DEP_2)
	v_fma_f64 v[2:3], v[10:11], v[2:3], s[2:3]
	s_mov_b32 s2, 0x51e5a9ff
	s_mov_b32 s3, 0x3d6b0e07
	v_fma_f64 v[0:1], v[10:11], v[0:1], s[4:5]
	s_mov_b32 s4, 0x1f1730cf
	s_mov_b32 s5, 0xbd124374
	s_delay_alu instid0(SALU_CYCLE_1)
	v_fma_f64 v[6:7], v[10:11], s[4:5], s[2:3]
	s_mov_b32 s2, 0x2dde47eb
	s_mov_b32 s3, 0xbd3b2ea0
	;; [unrolled: 1-line block ×3, first 2 shown]
	v_fma_f64 v[4:5], v[10:11], v[4:5], s[2:3]
	s_mov_b32 s2, 0x20c6b4c3
	s_mov_b32 s3, 0xbd6361fe
	;; [unrolled: 1-line block ×3, first 2 shown]
	s_delay_alu instid0(VALU_DEP_4) | instskip(SKIP_2) | instid1(VALU_DEP_4)
	v_fma_f64 v[2:3], v[10:11], v[2:3], s[2:3]
	s_mov_b32 s2, 0xaf607a62
	s_mov_b32 s3, 0xbd3203fc
	v_fma_f64 v[0:1], v[10:11], v[0:1], s[4:5]
	s_mov_b32 s4, 0xcf82f6da
	s_mov_b32 s5, 0x3d20861e
	s_delay_alu instid0(SALU_CYCLE_1)
	v_fma_f64 v[14:15], v[10:11], s[4:5], s[2:3]
	v_fma_f64 v[6:7], v[10:11], v[6:7], s[6:7]
	s_mov_b32 s2, 0x943bf4a1
	s_mov_b32 s4, 0x9848e494
	;; [unrolled: 1-line block ×6, first 2 shown]
	v_fma_f64 v[26:27], v[10:11], s[4:5], s[2:3]
	v_fma_f64 v[4:5], v[10:11], v[4:5], s[6:7]
	s_mov_b32 s2, 0x7d67c875
	s_mov_b32 s4, 0xbb46bb88
	;; [unrolled: 1-line block ×4, first 2 shown]
	v_fma_f64 v[2:3], v[10:11], v[2:3], s[2:3]
	s_mov_b32 s2, 0x379449e6
	s_mov_b32 s6, 0xb67383fc
	s_mov_b32 s3, 0xbcfc471b
	s_mov_b32 s7, 0x3d6dd2d2
	s_delay_alu instid0(SALU_CYCLE_1) | instskip(SKIP_3) | instid1(SALU_CYCLE_1)
	v_fma_f64 v[48:49], v[10:11], s[8:9], s[6:7]
	v_fma_f64 v[0:1], v[10:11], v[0:1], s[4:5]
	s_mov_b32 s4, 0xb96ca4e1
	s_mov_b32 s5, 0x3cf4e80f
	v_fma_f64 v[34:35], v[10:11], s[4:5], s[2:3]
	s_mov_b32 s2, 0x90d17054
	s_mov_b32 s4, 0xb9328db2
	s_mov_b32 s3, 0xbd87b644
	s_mov_b32 s5, 0xbde2f9ad
	v_fma_f64 v[14:15], v[10:11], v[14:15], s[2:3]
	v_fma_f64 v[6:7], v[10:11], v[6:7], s[4:5]
	s_mov_b32 s2, 0x6261858e
	s_mov_b32 s4, 0x6b0c0375
	s_mov_b32 s3, 0xbd701056
	s_mov_b32 s5, 0xbdb9a577
	v_fma_f64 v[26:27], v[10:11], v[26:27], s[2:3]
	v_fma_f64 v[4:5], v[10:11], v[4:5], s[4:5]
	s_mov_b32 s2, 0xdb152f20
	s_mov_b32 s4, 0xae2dd57d
	s_mov_b32 s3, 0xbddaa302
	s_mov_b32 s5, 0xbddba7b8
	v_fma_f64 v[2:3], v[10:11], v[2:3], s[2:3]
	s_mov_b32 s2, 0xb212e494
	s_mov_b32 s3, 0x3d585d02
	v_fma_f64 v[0:1], v[10:11], v[0:1], s[4:5]
	s_mov_b32 s4, 0xed268d58
	s_mov_b32 s5, 0xbdafce06
	v_fma_f64 v[34:35], v[10:11], v[34:35], s[2:3]
	v_fma_f64 v[48:49], v[10:11], v[48:49], s[4:5]
	s_mov_b32 s2, 0x2cb7b732
	s_mov_b32 s4, 0xfdfbd13
	s_mov_b32 s3, 0x3ddc3b74
	s_mov_b32 s5, 0xbe195f41
	v_fma_f64 v[14:15], v[10:11], v[14:15], s[2:3]
	v_fma_f64 v[6:7], v[10:11], v[6:7], s[4:5]
	s_mov_b32 s2, 0xb7847367
	s_mov_b32 s4, 0xad173909
	s_mov_b32 s3, 0x3daedc1c
	s_mov_b32 s5, 0x3df78f8f
	v_fma_f64 v[26:27], v[10:11], v[26:27], s[2:3]
	v_fma_f64 v[4:5], v[10:11], v[4:5], s[4:5]
	s_mov_b32 s2, 0xaa3c8778
	s_mov_b32 s4, 0x257b4f04
	s_mov_b32 s3, 0x3e13ef3d
	s_mov_b32 s5, 0x3e120c6f
	v_fma_f64 v[2:3], v[10:11], v[2:3], s[2:3]
	s_mov_b32 s2, 0x85d0e282
	s_mov_b32 s3, 0xbdc017b5
	v_fma_f64 v[0:1], v[10:11], v[0:1], s[4:5]
	s_mov_b32 s4, 0x6b39c22f
	s_mov_b32 s5, 0xbd9b0b55
	v_fma_f64 v[34:35], v[10:11], v[34:35], s[2:3]
	;; [unrolled: 24-line block ×9, first 2 shown]
	v_fma_f64 v[2:3], v[10:11], v[48:49], s[4:5]
	s_mov_b32 s2, 0xc0a93a7d
	s_mov_b32 s4, 0xde362d25
	s_mov_b32 s3, 0x3fe70bed
	s_mov_b32 s5, 0x401072c3
	v_fma_f64 v[4:5], v[10:11], v[14:15], s[2:3]
	v_fma_f64 v[6:7], v[10:11], v[6:7], s[4:5]
	s_mov_b32 s2, 0x6edd4e3b
	s_mov_b32 s4, 0xdabf427e
	s_mov_b32 s3, 0x3fcd0460
	s_mov_b32 s5, 0x3fb5c3fd
	v_fma_f64 v[52:53], v[10:11], v[26:27], s[2:3]
	;; [unrolled: 6-line block ×3, first 2 shown]
	v_fma_f64 v[50:51], v[10:11], v[115:116], s[4:5]
                                        ; implicit-def: $vgpr10_vgpr11
.LBB0_54:
	s_and_not1_saveexec_b32 s35, s0
	s_cbranch_execz .LBB0_76
; %bb.55:
                                        ; implicit-def: $vgpr50_vgpr51
                                        ; implicit-def: $vgpr54_vgpr55
                                        ; implicit-def: $vgpr6_vgpr7
                                        ; implicit-def: $vgpr2_vgpr3
	s_mov_b32 s0, exec_lo
	v_cmpx_ge_f64_e32 0x402e0000, v[10:11]
	s_xor_b32 s1, exec_lo, s0
	s_cbranch_execz .LBB0_57
; %bb.56:
	s_mov_b32 s2, 0xb621ca13
	s_mov_b32 s3, 0xbfc80b5d
	;; [unrolled: 1-line block ×3, first 2 shown]
	v_div_scale_f64 v[0:1], null, v[10:11], v[10:11], s[2:3]
	v_div_scale_f64 v[6:7], vcc_lo, s[2:3], v[10:11], s[2:3]
	s_mov_b32 s5, 0xbff71547
	v_add_f64 v[113:114], 0xc0290000, v[10:11]
	v_mul_f64 v[48:49], v[10:11], s[4:5]
	s_mov_b32 s4, 0xfefa39ef
	s_mov_b32 s5, 0xbfe62e42
	;; [unrolled: 1-line block ×10, first 2 shown]
	s_delay_alu instid0(VALU_DEP_4) | instskip(NEXT) | instid1(VALU_DEP_2)
	v_rcp_f64_e32 v[2:3], v[0:1]
	v_fma_f64 v[115:116], v[113:114], s[12:13], s[16:17]
	s_mov_b32 s12, 0xbdaf84d2
	s_mov_b32 s13, 0xbda60858
	;; [unrolled: 1-line block ×4, first 2 shown]
	s_waitcnt_depctr 0xfff
	v_fma_f64 v[4:5], -v[0:1], v[2:3], 1.0
	v_fma_f64 v[115:116], v[113:114], v[115:116], s[12:13]
	s_mov_b32 s12, 0xa9b29564
	s_mov_b32 s13, 0x3f120d23
	s_delay_alu instid0(VALU_DEP_2) | instskip(NEXT) | instid1(VALU_DEP_1)
	v_fma_f64 v[2:3], v[2:3], v[4:5], v[2:3]
	v_fma_f64 v[4:5], -v[0:1], v[2:3], 1.0
	s_delay_alu instid0(VALU_DEP_1) | instskip(NEXT) | instid1(VALU_DEP_1)
	v_fma_f64 v[2:3], v[2:3], v[4:5], v[2:3]
	v_mul_f64 v[4:5], v[6:7], v[2:3]
	s_delay_alu instid0(VALU_DEP_1) | instskip(NEXT) | instid1(VALU_DEP_1)
	v_fma_f64 v[0:1], -v[0:1], v[4:5], v[6:7]
	v_div_fmas_f64 v[0:1], v[0:1], v[2:3], v[4:5]
	s_delay_alu instid0(VALU_DEP_1)
	v_div_fixup_f64 v[0:1], v[0:1], v[10:11], s[2:3]
	s_mov_b32 s2, 0x1930dd58
	s_mov_b32 s3, 0x3fcd6df8
	s_delay_alu instid0(VALU_DEP_1) | instid1(SALU_CYCLE_1)
	v_add_f64 v[0:1], v[0:1], s[2:3]
	s_mov_b32 s2, 0xa84e6e89
	s_mov_b32 s3, 0xbfdfee97
	s_delay_alu instid0(VALU_DEP_1) | instskip(SKIP_1) | instid1(VALU_DEP_2)
	v_div_scale_f64 v[2:3], null, v[10:11], v[10:11], v[0:1]
	v_div_scale_f64 v[14:15], vcc_lo, v[0:1], v[10:11], v[0:1]
	v_rcp_f64_e32 v[4:5], v[2:3]
	s_waitcnt_depctr 0xfff
	v_fma_f64 v[6:7], -v[2:3], v[4:5], 1.0
	s_delay_alu instid0(VALU_DEP_1) | instskip(NEXT) | instid1(VALU_DEP_1)
	v_fma_f64 v[4:5], v[4:5], v[6:7], v[4:5]
	v_fma_f64 v[6:7], -v[2:3], v[4:5], 1.0
	s_delay_alu instid0(VALU_DEP_1) | instskip(NEXT) | instid1(VALU_DEP_1)
	v_fma_f64 v[4:5], v[4:5], v[6:7], v[4:5]
	v_mul_f64 v[6:7], v[14:15], v[4:5]
	s_delay_alu instid0(VALU_DEP_1) | instskip(NEXT) | instid1(VALU_DEP_1)
	v_fma_f64 v[2:3], -v[2:3], v[6:7], v[14:15]
	v_div_fmas_f64 v[2:3], v[2:3], v[4:5], v[6:7]
	s_delay_alu instid0(VALU_DEP_1) | instskip(NEXT) | instid1(VALU_DEP_1)
	v_div_fixup_f64 v[0:1], v[2:3], v[10:11], v[0:1]
	v_add_f64 v[0:1], v[0:1], s[2:3]
	s_mov_b32 s2, 0x54442d15
	s_mov_b32 s3, 0x3fe921fb
	s_delay_alu instid0(SALU_CYCLE_1) | instskip(NEXT) | instid1(VALU_DEP_2)
	v_div_scale_f64 v[4:5], null, v[10:11], v[10:11], s[2:3]
	v_div_scale_f64 v[2:3], null, v[10:11], v[10:11], v[0:1]
	v_div_scale_f64 v[50:51], vcc_lo, v[0:1], v[10:11], v[0:1]
	s_delay_alu instid0(VALU_DEP_3) | instskip(NEXT) | instid1(VALU_DEP_2)
	v_rcp_f64_e32 v[14:15], v[4:5]
	v_rcp_f64_e32 v[6:7], v[2:3]
	s_waitcnt_depctr 0xfff
	v_fma_f64 v[34:35], -v[4:5], v[14:15], 1.0
	v_fma_f64 v[26:27], -v[2:3], v[6:7], 1.0
	s_delay_alu instid0(VALU_DEP_2) | instskip(NEXT) | instid1(VALU_DEP_2)
	v_fma_f64 v[14:15], v[14:15], v[34:35], v[14:15]
	v_fma_f64 v[6:7], v[6:7], v[26:27], v[6:7]
	s_delay_alu instid0(VALU_DEP_2) | instskip(NEXT) | instid1(VALU_DEP_2)
	v_fma_f64 v[34:35], -v[4:5], v[14:15], 1.0
	v_fma_f64 v[26:27], -v[2:3], v[6:7], 1.0
	s_delay_alu instid0(VALU_DEP_2) | instskip(SKIP_1) | instid1(VALU_DEP_3)
	v_fma_f64 v[14:15], v[14:15], v[34:35], v[14:15]
	v_rndne_f64_e32 v[34:35], v[48:49]
	v_fma_f64 v[6:7], v[6:7], v[26:27], v[6:7]
	v_div_scale_f64 v[26:27], s0, s[2:3], v[10:11], s[2:3]
	s_delay_alu instid0(VALU_DEP_3) | instskip(SKIP_3) | instid1(VALU_DEP_4)
	v_fma_f64 v[54:55], v[34:35], s[4:5], -v[10:11]
	s_mov_b32 s4, 0xb9f3d158
	s_mov_b32 s5, 0xbc8ab66c
	v_cvt_i32_f64_e32 v119, v[34:35]
	v_mul_f64 v[48:49], v[50:51], v[6:7]
	s_delay_alu instid0(VALU_DEP_4) | instskip(NEXT) | instid1(VALU_DEP_2)
	v_mul_f64 v[52:53], v[26:27], v[14:15]
	v_fma_f64 v[2:3], -v[2:3], v[48:49], v[50:51]
	s_delay_alu instid0(VALU_DEP_2)
	v_fma_f64 v[4:5], -v[4:5], v[52:53], v[26:27]
	v_fma_f64 v[50:51], v[34:35], s[8:9], v[54:55]
	v_fma_f64 v[26:27], v[113:114], s[6:7], s[4:5]
	s_mov_b32 s6, 0xfca7ab0c
	s_mov_b32 s8, 0x6a5dcb37
	s_mov_b32 s7, 0x3e928af3
	s_mov_b32 s9, 0x3e5ade15
	s_mov_b32 s4, 0xa9a26937
	s_mov_b32 s5, 0x3cc69ac2
	s_delay_alu instid0(VALU_DEP_4) | instskip(SKIP_1) | instid1(VALU_DEP_4)
	v_div_fmas_f64 v[2:3], v[2:3], v[6:7], v[48:49]
	s_mov_b32 vcc_lo, s0
	v_div_fmas_f64 v[4:5], v[4:5], v[14:15], v[52:53]
	s_delay_alu instid0(VALU_DEP_4) | instskip(NEXT) | instid1(VALU_DEP_4)
	v_fma_f64 v[14:15], v[50:51], s[8:9], s[6:7]
	v_fma_f64 v[6:7], v[113:114], v[26:27], s[4:5]
	s_mov_b32 s4, 0x623fde64
	s_mov_b32 s5, 0x3ec71dee
	;; [unrolled: 1-line block ×6, first 2 shown]
	s_delay_alu instid0(SALU_CYCLE_1)
	v_fma_f64 v[54:55], v[113:114], s[8:9], s[6:7]
	s_mov_b32 s6, 0x1852b7b0
	s_mov_b32 s7, 0x3f56c16c
	;; [unrolled: 1-line block ×4, first 2 shown]
	v_div_fixup_f64 v[0:1], v[2:3], v[10:11], v[0:1]
	v_div_fixup_f64 v[4:5], v[4:5], v[10:11], s[2:3]
	v_fma_f64 v[14:15], v[50:51], v[14:15], s[4:5]
	s_mov_b32 s2, 0x29cb45e0
	s_mov_b32 s3, 0xbd041f41
	;; [unrolled: 1-line block ×3, first 2 shown]
	v_fma_f64 v[6:7], v[113:114], v[6:7], s[2:3]
	s_mov_b32 s2, 0x84a0c460
	s_mov_b32 s3, 0x3cc569db
	;; [unrolled: 1-line block ×3, first 2 shown]
	s_delay_alu instid0(SALU_CYCLE_1) | instskip(SKIP_4) | instid1(VALU_DEP_4)
	v_fma_f64 v[26:27], v[113:114], s[4:5], s[2:3]
	s_mov_b32 s4, 0x7c89e6b0
	s_mov_b32 s5, 0x3efa0199
	;; [unrolled: 1-line block ×4, first 2 shown]
	v_cmp_gt_f64_e32 vcc_lo, 0x10000000, v[4:5]
	s_delay_alu instid0(VALU_DEP_4) | instskip(SKIP_2) | instid1(VALU_DEP_4)
	v_fma_f64 v[14:15], v[50:51], v[14:15], s[4:5]
	s_mov_b32 s4, 0x14761f6e
	s_mov_b32 s5, 0x3f2a01a0
	v_fma_f64 v[6:7], v[113:114], v[6:7], s[2:3]
	s_mov_b32 s2, 0xf9e12faa
	s_mov_b32 s3, 0xbd09de5d
	s_delay_alu instid0(VALU_DEP_4) | instid1(SALU_CYCLE_1)
	v_fma_f64 v[26:27], v[113:114], v[26:27], s[2:3]
	s_mov_b32 s2, 0x5b4a1d3
	s_mov_b32 s3, 0xbd7998cc
	v_cndmask_b32_e64 v48, 0, 1, vcc_lo
	s_delay_alu instid0(VALU_DEP_4) | instskip(SKIP_2) | instid1(VALU_DEP_4)
	v_fma_f64 v[14:15], v[50:51], v[14:15], s[4:5]
	s_mov_b32 s4, 0x936c32ff
	s_mov_b32 s5, 0x3c8c86fc
	v_fma_f64 v[6:7], v[113:114], v[6:7], s[2:3]
	s_mov_b32 s2, 0xa2d91270
	s_mov_b32 s3, 0x3d4a7a1c
	s_delay_alu instid0(VALU_DEP_4) | instid1(SALU_CYCLE_1)
	v_fma_f64 v[26:27], v[113:114], v[26:27], s[2:3]
	s_mov_b32 s2, 0x328c27bd
	s_mov_b32 s3, 0x3cccf39d
	s_delay_alu instid0(SALU_CYCLE_1) | instskip(SKIP_4) | instid1(VALU_DEP_4)
	v_fma_f64 v[52:53], v[113:114], s[4:5], s[2:3]
	s_mov_b32 s2, 0xaeb4e9b
	s_mov_b32 s3, 0x3db20abf
	s_mov_b32 s4, 0x82d3b81b
	s_mov_b32 s5, 0xbd853ad7
	v_fma_f64 v[14:15], v[50:51], v[14:15], s[6:7]
	s_mov_b32 s6, 0xcf06091d
	s_mov_b32 s7, 0xbcfc0650
	s_delay_alu instid0(VALU_DEP_4) | instskip(SKIP_2) | instid1(SALU_CYCLE_1)
	v_fma_f64 v[6:7], v[113:114], v[6:7], s[2:3]
	s_mov_b32 s2, 0x9be51d6e
	s_mov_b32 s3, 0x3d3d4f20
	v_fma_f64 v[128:129], v[113:114], s[6:7], s[2:3]
	v_fma_f64 v[26:27], v[113:114], v[26:27], s[4:5]
	s_mov_b32 s4, 0x5ae5bc67
	s_mov_b32 s5, 0xbd2ea8e3
	;; [unrolled: 1-line block ×3, first 2 shown]
	v_fma_f64 v[54:55], v[113:114], v[54:55], s[4:5]
	s_mov_b32 s4, 0x11122322
	s_mov_b32 s5, 0x3f811111
	;; [unrolled: 1-line block ×4, first 2 shown]
	v_fma_f64 v[52:53], v[113:114], v[52:53], s[2:3]
	s_mov_b32 s2, 0xe431a3d5
	s_mov_b32 s3, 0xbde7a347
	;; [unrolled: 1-line block ×3, first 2 shown]
	s_delay_alu instid0(SALU_CYCLE_1)
	v_fma_f64 v[130:131], v[113:114], s[8:9], s[6:7]
	s_mov_b32 s8, 0xf864f1fa
	s_mov_b32 s9, 0x3dd0b245
	;; [unrolled: 1-line block ×3, first 2 shown]
	v_fma_f64 v[115:116], v[113:114], v[115:116], s[8:9]
	s_mov_b32 s8, 0x2882f8b5
	s_mov_b32 s9, 0x3e1b179e
	;; [unrolled: 1-line block ×3, first 2 shown]
	v_fma_f64 v[14:15], v[50:51], v[14:15], s[4:5]
	s_mov_b32 s4, 0x39716841
	s_mov_b32 s5, 0xbd68131a
	v_fma_f64 v[6:7], v[113:114], v[6:7], s[2:3]
	s_mov_b32 s2, 0xf1c8d04f
	s_mov_b32 s3, 0x3dc289d8
	v_fma_f64 v[128:129], v[113:114], v[128:129], s[4:5]
	s_mov_b32 s4, 0xd99b7863
	s_mov_b32 s5, 0xbd7c6324
	v_fma_f64 v[26:27], v[113:114], v[26:27], s[2:3]
	s_mov_b32 s2, 0xfbffcf3e
	v_fma_f64 v[54:55], v[113:114], v[54:55], s[4:5]
	s_mov_b32 s4, 0x555502a1
	s_mov_b32 s5, 0x3fa55555
	s_mov_b32 s3, 0xbd43673c
	s_delay_alu instid0(SALU_CYCLE_1)
	v_fma_f64 v[52:53], v[113:114], v[52:53], s[2:3]
	s_mov_b32 s2, 0x87b95ba7
	s_mov_b32 s3, 0x3e1c214a
	v_fma_f64 v[130:131], v[113:114], v[130:131], s[6:7]
	s_mov_b32 s6, 0x1fcfb25f
	s_mov_b32 s7, 0xbdca49c8
	v_fma_f64 v[115:116], v[113:114], v[115:116], s[8:9]
	s_mov_b32 s8, 0x71fc221d
	s_mov_b32 s9, 0xbe559a2b
	v_fma_f64 v[14:15], v[50:51], v[14:15], s[4:5]
	s_mov_b32 s4, 0x36bc0b49
	s_mov_b32 s5, 0x3db1566a
	v_fma_f64 v[6:7], v[113:114], v[6:7], s[2:3]
	s_mov_b32 s2, 0x770be2cb
	s_mov_b32 s3, 0xbe00f3fb
	v_fma_f64 v[128:129], v[113:114], v[128:129], s[4:5]
	s_mov_b32 s4, 0x65f523af
	s_mov_b32 s5, 0x3d913278
	v_fma_f64 v[26:27], v[113:114], v[26:27], s[2:3]
	s_mov_b32 s2, 0x980128d2
	v_fma_f64 v[54:55], v[113:114], v[54:55], s[4:5]
	s_mov_b32 s4, 0x55555511
	s_mov_b32 s5, 0x3fc55555
	s_mov_b32 s3, 0x3d68a6e7
	s_delay_alu instid0(SALU_CYCLE_1)
	v_fma_f64 v[52:53], v[113:114], v[52:53], s[2:3]
	s_mov_b32 s2, 0xac1f01c4
	s_mov_b32 s3, 0xbe4de6a9
	v_fma_f64 v[130:131], v[113:114], v[130:131], s[6:7]
	s_mov_b32 s6, 0x118c1b6d
	s_mov_b32 s7, 0x3e1c8867
	v_fma_f64 v[115:116], v[113:114], v[115:116], s[8:9]
	s_mov_b32 s8, 0xad7a8204
	s_mov_b32 s9, 0x3ed511c2
	;; [unrolled: 25-line block ×3, first 2 shown]
	v_fma_f64 v[6:7], v[113:114], v[6:7], s[2:3]
	s_mov_b32 s2, 0x1bf78104
	s_mov_b32 s3, 0xbe71fbf8
	v_fma_f64 v[128:129], v[113:114], v[128:129], s[4:5]
	s_mov_b32 s4, 0x7d8a763
	s_mov_b32 s5, 0x3e0e2f1b
	v_fma_f64 v[26:27], v[113:114], v[26:27], s[2:3]
	s_mov_b32 s2, 0x1b0e80de
	s_mov_b32 s3, 0x3dd62eab
	v_fma_f64 v[54:55], v[113:114], v[54:55], s[4:5]
	s_mov_b32 s4, 0x3147d825
	s_mov_b32 s5, 0xbea86a56
	v_fma_f64 v[52:53], v[113:114], v[52:53], s[2:3]
	s_mov_b32 s2, 0xc3358eb4
	s_mov_b32 s3, 0xbe88c468
	s_delay_alu instid0(SALU_CYCLE_1)
	v_fma_f64 v[115:116], v[113:114], v[115:116], s[2:3]
	v_fma_f64 v[130:131], v[113:114], v[130:131], s[6:7]
	s_mov_b32 s2, 0x4e0ebf02
	s_mov_b32 s3, 0x3ea93ee5
	;; [unrolled: 1-line block ×4, first 2 shown]
	v_fma_f64 v[14:15], v[50:51], v[14:15], 1.0
	v_fma_f64 v[6:7], v[113:114], v[6:7], s[4:5]
	s_mov_b32 s4, 0x2a9f05b
	s_mov_b32 s5, 0xbe764ca3
	s_delay_alu instid0(SALU_CYCLE_1)
	v_fma_f64 v[128:129], v[113:114], v[128:129], s[4:5]
	s_mov_b32 s4, 0x508feddf
	s_mov_b32 s5, 0xbe7008d7
	v_fma_f64 v[26:27], v[113:114], v[26:27], s[2:3]
	s_mov_b32 s2, 0xc84ffb7c
	s_mov_b32 s3, 0xbe365c8a
	;; [unrolled: 3-line block ×4, first 2 shown]
	v_fma_f64 v[34:35], v[113:114], v[115:116], s[8:9]
	v_cndmask_b32_e64 v115, 0, 0xffffff80, vcc_lo
	v_cmp_nlt_f64_e32 vcc_lo, 0x4090cc00, v[10:11]
	v_fma_f64 v[130:131], v[113:114], v[130:131], s[6:7]
	s_mov_b32 s6, 0x665272d6
	s_mov_b32 s8, 0x2a7270ff
	;; [unrolled: 1-line block ×4, first 2 shown]
	v_fma_f64 v[14:15], v[50:51], v[14:15], 1.0
	v_fma_f64 v[6:7], v[113:114], v[6:7], s[2:3]
	s_mov_b32 s2, 0x5a32f39e
	s_mov_b32 s3, 0xbee0f5b8
	v_fma_f64 v[50:51], v[113:114], v[128:129], s[4:5]
	s_mov_b32 s4, 0x9b765962
	s_mov_b32 s5, 0x3eaf1023
	;; [unrolled: 3-line block ×3, first 2 shown]
	s_delay_alu instid0(SALU_CYCLE_1)
	v_fma_f64 v[2:3], v[113:114], v[52:53], s[2:3]
	v_fma_f64 v[52:53], v[113:114], v[54:55], s[4:5]
	s_mov_b32 s2, 0xc06dcc60
	s_mov_b32 s4, 0x3edd2a8f
	v_fma_f64 v[34:35], v[113:114], v[34:35], s[8:9]
	s_mov_b32 s3, 0xbef5d137
	s_mov_b32 s5, 0xbef6fb2b
	v_fma_f64 v[54:55], v[113:114], v[130:131], s[6:7]
	v_add_f64 v[0:1], v[0:1], s[4:5]
	s_mov_b32 s4, 0x5908bf9d
	s_mov_b32 s5, 0xbef5381e
	;; [unrolled: 1-line block ×6, first 2 shown]
	v_ldexp_f64 v[14:15], v[14:15], v119
	v_lshlrev_b32_e32 v48, 8, v48
	v_fma_f64 v[6:7], v[113:114], v[6:7], s[16:17]
	s_delay_alu instid0(VALU_DEP_2)
	v_ldexp_f64 v[4:5], v[4:5], v48
	v_fma_f64 v[26:27], v[113:114], v[26:27], s[12:13]
	s_mov_b32 s12, 0x51ff4182
	s_mov_b32 s13, 0x3f164a33
	v_fma_f64 v[52:53], v[113:114], v[52:53], s[4:5]
	s_mov_b32 s4, 0xb3d02421
	s_mov_b32 s5, 0x3f308a83
	v_fma_f64 v[34:35], v[113:114], v[34:35], s[8:9]
	v_fma_f64 v[54:55], v[113:114], v[54:55], s[6:7]
	v_rsq_f64_e32 v[48:49], v[4:5]
	v_cmp_class_f64_e64 s0, v[4:5], 0x260
	s_waitcnt_depctr 0xfff
	v_mul_f64 v[117:118], v[4:5], v[48:49]
	v_mul_f64 v[48:49], v[48:49], 0.5
	s_delay_alu instid0(VALU_DEP_1) | instskip(NEXT) | instid1(VALU_DEP_1)
	v_fma_f64 v[132:133], -v[48:49], v[117:118], 0.5
	v_fma_f64 v[117:118], v[117:118], v[132:133], v[117:118]
	v_fma_f64 v[48:49], v[48:49], v[132:133], v[48:49]
	s_delay_alu instid0(VALU_DEP_2) | instskip(NEXT) | instid1(VALU_DEP_1)
	v_fma_f64 v[132:133], -v[117:118], v[117:118], v[4:5]
	v_fma_f64 v[117:118], v[132:133], v[48:49], v[117:118]
	s_delay_alu instid0(VALU_DEP_1) | instskip(NEXT) | instid1(VALU_DEP_1)
	v_fma_f64 v[132:133], -v[117:118], v[117:118], v[4:5]
	v_fma_f64 v[48:49], v[132:133], v[48:49], v[117:118]
	s_delay_alu instid0(VALU_DEP_1)
	v_ldexp_f64 v[10:11], v[48:49], v115
	v_fma_f64 v[48:49], v[113:114], v[50:51], s[2:3]
	s_mov_b32 s2, 0xf4998eed
	s_mov_b32 s3, 0xbebb18e9
	v_fma_f64 v[50:51], v[113:114], v[6:7], s[12:13]
	v_cndmask_b32_e32 v7, 0, v15, vcc_lo
	v_fma_f64 v[2:3], v[113:114], v[2:3], s[2:3]
	v_cndmask_b32_e32 v6, 0, v14, vcc_lo
	s_mov_b32 s2, 0xf9b02361
	s_mov_b32 s3, 0xbf3e9c15
	v_cndmask_b32_e64 v5, v11, v5, s0
	v_cndmask_b32_e64 v4, v10, v4, s0
	v_fma_f64 v[10:11], v[113:114], v[26:27], s[2:3]
	v_fma_f64 v[14:15], v[113:114], v[48:49], s[4:5]
	s_mov_b32 s2, 0x1d8533a2
	s_mov_b32 s4, 0x5383a2e3
	v_fma_f64 v[0:1], v[0:1], v[6:7], v[4:5]
	s_mov_b32 s3, 0x3f05c329
	s_mov_b32 s5, 0x3f402210
	v_fma_f64 v[2:3], v[113:114], v[2:3], s[2:3]
	v_fma_f64 v[4:5], v[113:114], v[52:53], s[4:5]
	s_mov_b32 s2, 0x4847c5e4
	s_mov_b32 s4, 0xe1eb1399
	s_mov_b32 s3, 0x3f66242a
	s_mov_b32 s5, 0x3f9cba2d
	v_fma_f64 v[6:7], v[113:114], v[54:55], s[2:3]
	v_fma_f64 v[26:27], v[113:114], v[34:35], s[4:5]
	s_mov_b32 s2, 0x5b4aa263
	s_mov_b32 s4, 0x34bab59b
	;; [unrolled: 6-line block ×3, first 2 shown]
	v_add_f64 v[0:1], v[0:1], -v[50:51]
	s_mov_b32 s4, 0xebea1e3b
	s_mov_b32 s5, 0xbfa47211
	v_fma_f64 v[2:3], v[113:114], v[2:3], s[2:3]
	s_mov_b32 s2, 0x57d3fda3
	s_mov_b32 s3, 0xbf81c91e
	s_delay_alu instid0(SALU_CYCLE_1)
	v_fma_f64 v[4:5], v[113:114], v[4:5], s[2:3]
	s_mov_b32 s2, 0x7a0c1b65
	v_fma_f64 v[6:7], v[113:114], v[6:7], s[4:5]
	s_mov_b32 s4, 0xbbb21fff
	s_mov_b32 s3, 0xbfd1da61
	;; [unrolled: 1-line block ×3, first 2 shown]
	v_fma_f64 v[14:15], v[113:114], v[26:27], s[2:3]
	s_mov_b32 s2, 0x18b2a590
	s_mov_b32 s3, 0x3f8762cf
	v_fma_f64 v[54:55], v[113:114], v[10:11], s[4:5]
	s_mov_b32 s4, 0x3c40913b
	s_mov_b32 s5, 0x3fbda6c5
	v_add_f64 v[10:11], v[0:1], -v[48:49]
	v_fma_f64 v[0:1], v[113:114], v[2:3], s[2:3]
	s_mov_b32 s2, 0x36e40422
	s_mov_b32 s3, 0x3fdbbded
	v_fma_f64 v[2:3], v[113:114], v[4:5], s[4:5]
	s_mov_b32 s4, 0xccde8d54
	s_mov_b32 s5, 0x3ffd40f2
	v_fma_f64 v[4:5], v[113:114], v[6:7], s[2:3]
	v_fma_f64 v[6:7], v[113:114], v[14:15], s[4:5]
	v_add_f64 v[52:53], v[10:11], -v[54:55]
                                        ; implicit-def: $vgpr10_vgpr11
.LBB0_57:
	s_and_not1_saveexec_b32 s46, s1
	s_cbranch_execz .LBB0_75
; %bb.58:
	s_mov_b32 s0, exec_lo
                                        ; implicit-def: $vgpr50_vgpr51
                                        ; implicit-def: $vgpr54_vgpr55
                                        ; implicit-def: $vgpr6_vgpr7
                                        ; implicit-def: $vgpr2_vgpr3
	v_cmpx_ge_f64_e32 0x40340000, v[10:11]
	s_xor_b32 s0, exec_lo, s0
	s_cbranch_execz .LBB0_60
; %bb.59:
	s_mov_b32 s2, 0x54442d15
	s_mov_b32 s3, 0x3fe921fb
	v_add_f64 v[26:27], 0xc0318000, v[10:11]
	v_div_scale_f64 v[0:1], null, v[10:11], v[10:11], s[2:3]
	s_mov_b32 s4, 0x9a0e0f07
	s_mov_b32 s5, 0x3c892c94
	s_delay_alu instid0(VALU_DEP_1) | instskip(SKIP_2) | instid1(VALU_DEP_1)
	v_rcp_f64_e32 v[2:3], v[0:1]
	s_waitcnt_depctr 0xfff
	v_fma_f64 v[4:5], -v[0:1], v[2:3], 1.0
	v_fma_f64 v[2:3], v[2:3], v[4:5], v[2:3]
	s_delay_alu instid0(VALU_DEP_1) | instskip(NEXT) | instid1(VALU_DEP_1)
	v_fma_f64 v[4:5], -v[0:1], v[2:3], 1.0
	v_fma_f64 v[2:3], v[2:3], v[4:5], v[2:3]
	v_div_scale_f64 v[4:5], vcc_lo, s[2:3], v[10:11], s[2:3]
	s_delay_alu instid0(VALU_DEP_1) | instskip(NEXT) | instid1(VALU_DEP_1)
	v_mul_f64 v[6:7], v[4:5], v[2:3]
	v_fma_f64 v[0:1], -v[0:1], v[6:7], v[4:5]
	s_delay_alu instid0(VALU_DEP_1) | instskip(NEXT) | instid1(VALU_DEP_1)
	v_div_fmas_f64 v[0:1], v[0:1], v[2:3], v[6:7]
	v_div_fixup_f64 v[0:1], v[0:1], v[10:11], s[2:3]
	s_mov_b32 s2, 0x3b3efd91
	s_mov_b32 s3, 0xbca043d2
	s_delay_alu instid0(VALU_DEP_1) | instskip(SKIP_1) | instid1(VALU_DEP_1)
	v_cmp_gt_f64_e32 vcc_lo, 0x10000000, v[0:1]
	v_cndmask_b32_e64 v2, 0, 1, vcc_lo
	v_lshlrev_b32_e32 v2, 8, v2
	s_delay_alu instid0(VALU_DEP_1) | instskip(NEXT) | instid1(VALU_DEP_1)
	v_ldexp_f64 v[0:1], v[0:1], v2
	v_rsq_f64_e32 v[2:3], v[0:1]
	s_waitcnt_depctr 0xfff
	v_mul_f64 v[4:5], v[0:1], v[2:3]
	v_mul_f64 v[2:3], v[2:3], 0.5
	s_delay_alu instid0(VALU_DEP_1) | instskip(NEXT) | instid1(VALU_DEP_1)
	v_fma_f64 v[6:7], -v[2:3], v[4:5], 0.5
	v_fma_f64 v[4:5], v[4:5], v[6:7], v[4:5]
	v_fma_f64 v[2:3], v[2:3], v[6:7], v[2:3]
	s_delay_alu instid0(VALU_DEP_2) | instskip(NEXT) | instid1(VALU_DEP_1)
	v_fma_f64 v[14:15], -v[4:5], v[4:5], v[0:1]
	v_fma_f64 v[4:5], v[14:15], v[2:3], v[4:5]
	s_delay_alu instid0(VALU_DEP_1) | instskip(NEXT) | instid1(VALU_DEP_1)
	v_fma_f64 v[6:7], -v[4:5], v[4:5], v[0:1]
	v_fma_f64 v[2:3], v[6:7], v[2:3], v[4:5]
	v_cndmask_b32_e64 v4, 0, 0xffffff80, vcc_lo
	v_cmp_class_f64_e64 vcc_lo, v[0:1], 0x260
	s_delay_alu instid0(VALU_DEP_2) | instskip(NEXT) | instid1(VALU_DEP_1)
	v_ldexp_f64 v[2:3], v[2:3], v4
	v_dual_cndmask_b32 v15, v3, v1 :: v_dual_cndmask_b32 v14, v2, v0
	v_fma_f64 v[0:1], v[26:27], s[4:5], s[2:3]
	s_mov_b32 s2, 0x1914b161
	s_mov_b32 s3, 0xbcfbb24b
	;; [unrolled: 1-line block ×4, first 2 shown]
	s_delay_alu instid0(VALU_DEP_1)
	v_fma_f64 v[0:1], v[26:27], v[0:1], s[2:3]
	s_mov_b32 s2, 0x39566f7e
	s_mov_b32 s3, 0x3d3061eb
	s_delay_alu instid0(VALU_DEP_1) | instid1(SALU_CYCLE_1)
	v_fma_f64 v[0:1], v[26:27], v[0:1], s[2:3]
	s_mov_b32 s2, 0x330c2342
	s_mov_b32 s3, 0x3d5ef037
	s_delay_alu instid0(VALU_DEP_1) | instid1(SALU_CYCLE_1)
	v_fma_f64 v[0:1], v[26:27], v[0:1], s[2:3]
	s_mov_b32 s2, 0x65ee2f0a
	s_mov_b32 s3, 0xbdab572d
	s_delay_alu instid0(VALU_DEP_1) | instid1(SALU_CYCLE_1)
	v_fma_f64 v[0:1], v[26:27], v[0:1], s[2:3]
	s_mov_b32 s2, 0x8371e47a
	s_mov_b32 s3, 0x3dd27254
	s_delay_alu instid0(VALU_DEP_1) | instid1(SALU_CYCLE_1)
	v_fma_f64 v[0:1], v[26:27], v[0:1], s[2:3]
	s_mov_b32 s2, 0x3f80e0fb
	s_mov_b32 s3, 0x3df0c21f
	s_delay_alu instid0(VALU_DEP_1) | instid1(SALU_CYCLE_1)
	v_fma_f64 v[0:1], v[26:27], v[0:1], s[2:3]
	s_mov_b32 s2, 0xc59c3d44
	s_mov_b32 s3, 0x3e51fdd7
	s_delay_alu instid0(VALU_DEP_1) | instid1(SALU_CYCLE_1)
	v_fma_f64 v[0:1], v[26:27], v[0:1], s[2:3]
	s_mov_b32 s2, 0xf1a3d3fd
	s_mov_b32 s3, 0xbeaf4c29
	s_delay_alu instid0(VALU_DEP_1) | instid1(SALU_CYCLE_1)
	v_fma_f64 v[0:1], v[26:27], v[0:1], s[2:3]
	s_mov_b32 s2, 0xffc4948c
	s_mov_b32 s3, 0x3ef9106c
	s_delay_alu instid0(VALU_DEP_1) | instid1(SALU_CYCLE_1)
	v_fma_f64 v[0:1], v[26:27], v[0:1], s[2:3]
	s_mov_b32 s2, 0xb87bd65f
	s_mov_b32 s3, 0xbf3eb69c
	s_delay_alu instid0(VALU_DEP_1) | instid1(SALU_CYCLE_1)
	v_fma_f64 v[0:1], v[26:27], v[0:1], s[2:3]
	s_mov_b32 s2, 0x337716bf
	s_mov_b32 s3, 0x3f8119b0
	s_delay_alu instid0(VALU_DEP_1) | instid1(SALU_CYCLE_1)
	v_fma_f64 v[0:1], v[26:27], v[0:1], s[2:3]
	s_mov_b32 s2, 0x981b2925
	s_mov_b32 s3, 0xbcb2c9aa
	s_delay_alu instid0(SALU_CYCLE_1) | instskip(SKIP_4) | instid1(VALU_DEP_1)
	v_fma_f64 v[2:3], v[26:27], s[4:5], s[2:3]
	s_mov_b32 s2, 0x35f4923d
	s_mov_b32 s3, 0xbd35e297
	s_mov_b32 s4, 0x74e4f6e6
	s_mov_b32 s5, 0x3ce13fa6
	v_fma_f64 v[2:3], v[26:27], v[2:3], s[2:3]
	s_mov_b32 s2, 0x5759b54f
	s_mov_b32 s3, 0x3d6449a5
	s_delay_alu instid0(VALU_DEP_1) | instid1(SALU_CYCLE_1)
	v_fma_f64 v[2:3], v[26:27], v[2:3], s[2:3]
	s_mov_b32 s2, 0x99195019
	s_mov_b32 s3, 0x3d9c4a92
	s_delay_alu instid0(VALU_DEP_1) | instid1(SALU_CYCLE_1)
	v_fma_f64 v[2:3], v[26:27], v[2:3], s[2:3]
	s_mov_b32 s2, 0xf7340b9d
	s_mov_b32 s3, 0xbde32ebd
	s_delay_alu instid0(VALU_DEP_1) | instid1(SALU_CYCLE_1)
	v_fma_f64 v[2:3], v[26:27], v[2:3], s[2:3]
	s_mov_b32 s2, 0x87d875e3
	s_mov_b32 s3, 0x3e0475a5
	s_delay_alu instid0(VALU_DEP_1) | instid1(SALU_CYCLE_1)
	v_fma_f64 v[2:3], v[26:27], v[2:3], s[2:3]
	s_mov_b32 s2, 0xdfdfa6c1
	s_mov_b32 s3, 0x3e24d400
	s_delay_alu instid0(VALU_DEP_1) | instid1(SALU_CYCLE_1)
	v_fma_f64 v[2:3], v[26:27], v[2:3], s[2:3]
	s_mov_b32 s2, 0xa9feb998
	s_mov_b32 s3, 0x3e909bc5
	s_delay_alu instid0(VALU_DEP_1) | instid1(SALU_CYCLE_1)
	v_fma_f64 v[2:3], v[26:27], v[2:3], s[2:3]
	s_mov_b32 s2, 0xb6dd03ff
	s_mov_b32 s3, 0xbee80e77
	s_delay_alu instid0(VALU_DEP_1) | instid1(SALU_CYCLE_1)
	v_fma_f64 v[2:3], v[26:27], v[2:3], s[2:3]
	s_mov_b32 s2, 0x6af742f4
	s_mov_b32 s3, 0x3f31c6dc
	s_delay_alu instid0(VALU_DEP_1) | instid1(SALU_CYCLE_1)
	v_fma_f64 v[2:3], v[26:27], v[2:3], s[2:3]
	s_mov_b32 s2, 0x8f4e8d24
	s_mov_b32 s3, 0xbf745975
	s_delay_alu instid0(VALU_DEP_1) | instid1(SALU_CYCLE_1)
	v_fma_f64 v[2:3], v[26:27], v[2:3], s[2:3]
	s_mov_b32 s2, 0x9b2718ff
	s_mov_b32 s3, 0x3fb52568
	s_delay_alu instid0(VALU_DEP_1) | instid1(SALU_CYCLE_1)
	v_fma_f64 v[2:3], v[26:27], v[2:3], s[2:3]
	s_mov_b32 s2, 0x43c1bb52
	s_mov_b32 s3, 0x3d10c208
	s_delay_alu instid0(SALU_CYCLE_1) | instskip(SKIP_4) | instid1(VALU_DEP_1)
	v_fma_f64 v[4:5], v[26:27], s[4:5], s[2:3]
	s_mov_b32 s2, 0x556f88ca
	s_mov_b32 s3, 0xbd5e60ae
	s_mov_b32 s4, 0x58f486e5
	s_mov_b32 s5, 0xbcf87c68
	;; [unrolled: 49-line block ×4, first 2 shown]
	v_fma_f64 v[34:35], v[26:27], v[34:35], s[2:3]
	s_mov_b32 s2, 0x4ecd8a72
	s_mov_b32 s3, 0x3ce5b7d6
	s_delay_alu instid0(VALU_DEP_1) | instid1(SALU_CYCLE_1)
	v_fma_f64 v[34:35], v[26:27], v[34:35], s[2:3]
	s_mov_b32 s2, 0x95d3a674
	s_mov_b32 s3, 0xbd2446bb
	s_delay_alu instid0(VALU_DEP_1) | instid1(SALU_CYCLE_1)
	;; [unrolled: 4-line block ×11, first 2 shown]
	v_fma_f64 v[50:51], v[26:27], v[34:35], s[2:3]
	s_mov_b32 s2, 0x48262558
	s_mov_b32 s3, 0x3cb35d88
	s_delay_alu instid0(SALU_CYCLE_1) | instskip(SKIP_4) | instid1(VALU_DEP_1)
	v_fma_f64 v[34:35], v[26:27], s[4:5], s[2:3]
	s_mov_b32 s2, 0x3cc7f543
	s_mov_b32 s3, 0x3d0e6092
	s_mov_b32 s4, 0xe9686ee0
	s_mov_b32 s5, 0xbcaae0db
	v_fma_f64 v[34:35], v[26:27], v[34:35], s[2:3]
	s_mov_b32 s2, 0x7fa9cc7e
	s_mov_b32 s3, 0xbd51a506
	s_delay_alu instid0(VALU_DEP_1) | instid1(SALU_CYCLE_1)
	v_fma_f64 v[34:35], v[26:27], v[34:35], s[2:3]
	s_mov_b32 s2, 0x8d2c23ca
	s_mov_b32 s3, 0x3d811a43
	s_delay_alu instid0(VALU_DEP_1) | instid1(SALU_CYCLE_1)
	;; [unrolled: 4-line block ×10, first 2 shown]
	v_fma_f64 v[48:49], v[26:27], v[34:35], s[2:3]
	s_mov_b32 s2, 0x577756a9
	s_mov_b32 s3, 0x3cd5040b
	s_delay_alu instid0(SALU_CYCLE_1) | instskip(SKIP_4) | instid1(VALU_DEP_1)
	v_fma_f64 v[34:35], v[26:27], s[4:5], s[2:3]
	s_mov_b32 s2, 0x32956878
	s_mov_b32 s3, 0x3d1cdd66
	;; [unrolled: 1-line block ×4, first 2 shown]
	v_fma_f64 v[34:35], v[26:27], v[34:35], s[2:3]
	s_mov_b32 s2, 0x3bf33b8f
	s_mov_b32 s3, 0xbd5fa782
	s_delay_alu instid0(VALU_DEP_1) | instid1(SALU_CYCLE_1)
	v_fma_f64 v[34:35], v[26:27], v[34:35], s[2:3]
	s_mov_b32 s2, 0x39b3fd73
	s_mov_b32 s3, 0x3d7f0dba
	s_delay_alu instid0(VALU_DEP_1) | instid1(SALU_CYCLE_1)
	;; [unrolled: 4-line block ×10, first 2 shown]
	v_fma_f64 v[54:55], v[26:27], v[34:35], s[2:3]
	s_mov_b32 s2, 0xb4d0174d
	s_mov_b32 s3, 0x3fc91e26
	s_delay_alu instid0(SALU_CYCLE_1) | instskip(NEXT) | instid1(VALU_DEP_1)
	v_div_scale_f64 v[26:27], null, v[10:11], v[10:11], s[2:3]
	v_rcp_f64_e32 v[34:35], v[26:27]
	s_waitcnt_depctr 0xfff
	v_fma_f64 v[52:53], -v[26:27], v[34:35], 1.0
	s_delay_alu instid0(VALU_DEP_1) | instskip(NEXT) | instid1(VALU_DEP_1)
	v_fma_f64 v[34:35], v[34:35], v[52:53], v[34:35]
	v_fma_f64 v[52:53], -v[26:27], v[34:35], 1.0
	s_delay_alu instid0(VALU_DEP_1) | instskip(SKIP_1) | instid1(VALU_DEP_1)
	v_fma_f64 v[34:35], v[34:35], v[52:53], v[34:35]
	v_div_scale_f64 v[52:53], vcc_lo, s[2:3], v[10:11], s[2:3]
	v_mul_f64 v[113:114], v[52:53], v[34:35]
	s_delay_alu instid0(VALU_DEP_1) | instskip(NEXT) | instid1(VALU_DEP_1)
	v_fma_f64 v[26:27], -v[26:27], v[113:114], v[52:53]
	v_div_fmas_f64 v[26:27], v[26:27], v[34:35], v[113:114]
	s_delay_alu instid0(VALU_DEP_1)
	v_div_fixup_f64 v[26:27], v[26:27], v[10:11], s[2:3]
	s_mov_b32 s2, 0x80245b5f
	s_mov_b32 s3, 0xbfdfce11
	s_delay_alu instid0(VALU_DEP_1) | instid1(SALU_CYCLE_1)
	v_add_f64 v[26:27], v[26:27], s[2:3]
	s_mov_b32 s2, 0x6403a8cf
	s_mov_b32 s3, 0xbf0f8a14
	s_delay_alu instid0(VALU_DEP_1) | instskip(NEXT) | instid1(VALU_DEP_1)
	v_div_scale_f64 v[34:35], null, v[10:11], v[10:11], v[26:27]
	v_rcp_f64_e32 v[52:53], v[34:35]
	s_waitcnt_depctr 0xfff
	v_fma_f64 v[113:114], -v[34:35], v[52:53], 1.0
	s_delay_alu instid0(VALU_DEP_1) | instskip(NEXT) | instid1(VALU_DEP_1)
	v_fma_f64 v[52:53], v[52:53], v[113:114], v[52:53]
	v_fma_f64 v[113:114], -v[34:35], v[52:53], 1.0
	s_delay_alu instid0(VALU_DEP_1) | instskip(SKIP_1) | instid1(VALU_DEP_1)
	v_fma_f64 v[52:53], v[52:53], v[113:114], v[52:53]
	v_div_scale_f64 v[113:114], vcc_lo, v[26:27], v[10:11], v[26:27]
	v_mul_f64 v[115:116], v[113:114], v[52:53]
	s_delay_alu instid0(VALU_DEP_1) | instskip(NEXT) | instid1(VALU_DEP_1)
	v_fma_f64 v[34:35], -v[34:35], v[115:116], v[113:114]
	v_div_fmas_f64 v[34:35], v[34:35], v[52:53], v[115:116]
	v_cmp_nlt_f64_e32 vcc_lo, 0x4090cc00, v[10:11]
	s_delay_alu instid0(VALU_DEP_2) | instskip(NEXT) | instid1(VALU_DEP_1)
	v_div_fixup_f64 v[26:27], v[34:35], v[10:11], v[26:27]
	v_add_f64 v[26:27], v[26:27], s[2:3]
	s_mov_b32 s2, 0x652b82fe
	s_mov_b32 s3, 0xbff71547
	s_delay_alu instid0(SALU_CYCLE_1) | instskip(SKIP_2) | instid1(VALU_DEP_1)
	v_mul_f64 v[34:35], v[10:11], s[2:3]
	s_mov_b32 s2, 0xfefa39ef
	s_mov_b32 s3, 0xbfe62e42
	v_rndne_f64_e32 v[34:35], v[34:35]
	s_delay_alu instid0(VALU_DEP_1)
	v_fma_f64 v[52:53], v[34:35], s[2:3], -v[10:11]
	s_mov_b32 s2, 0x3b39803f
	s_mov_b32 s3, 0xbc7abc9e
	s_delay_alu instid0(VALU_DEP_1) | instid1(SALU_CYCLE_1)
	v_fma_f64 v[52:53], v[34:35], s[2:3], v[52:53]
	s_mov_b32 s2, 0xfca7ab0c
	s_mov_b32 s3, 0x3e928af3
	v_cvt_i32_f64_e32 v34, v[34:35]
	s_delay_alu instid0(VALU_DEP_2)
	v_fma_f64 v[113:114], v[52:53], s[4:5], s[2:3]
	s_mov_b32 s2, 0x623fde64
	s_mov_b32 s3, 0x3ec71dee
	s_delay_alu instid0(VALU_DEP_1) | instid1(SALU_CYCLE_1)
	v_fma_f64 v[113:114], v[52:53], v[113:114], s[2:3]
	s_mov_b32 s2, 0x7c89e6b0
	s_mov_b32 s3, 0x3efa0199
	s_delay_alu instid0(VALU_DEP_1) | instid1(SALU_CYCLE_1)
	;; [unrolled: 4-line block ×8, first 2 shown]
	v_fma_f64 v[113:114], v[52:53], v[113:114], s[2:3]
	s_delay_alu instid0(VALU_DEP_1) | instskip(NEXT) | instid1(VALU_DEP_1)
	v_fma_f64 v[113:114], v[52:53], v[113:114], 1.0
	v_fma_f64 v[52:53], v[52:53], v[113:114], 1.0
	s_delay_alu instid0(VALU_DEP_1) | instskip(NEXT) | instid1(VALU_DEP_1)
	v_ldexp_f64 v[34:35], v[52:53], v34
	v_dual_cndmask_b32 v11, 0, v35 :: v_dual_cndmask_b32 v10, 0, v34
	s_delay_alu instid0(VALU_DEP_1) | instskip(NEXT) | instid1(VALU_DEP_1)
	v_fma_f64 v[10:11], v[26:27], v[10:11], v[14:15]
	v_add_f64 v[10:11], v[10:11], -v[54:55]
	s_delay_alu instid0(VALU_DEP_1) | instskip(NEXT) | instid1(VALU_DEP_1)
	v_add_f64 v[10:11], v[10:11], -v[48:49]
	v_add_f64 v[52:53], v[10:11], -v[50:51]
                                        ; implicit-def: $vgpr10_vgpr11
.LBB0_60:
	s_and_not1_saveexec_b32 s47, s0
	s_cbranch_execz .LBB0_74
; %bb.61:
	s_mov_b32 s0, exec_lo
                                        ; implicit-def: $vgpr50_vgpr51
                                        ; implicit-def: $vgpr54_vgpr55
                                        ; implicit-def: $vgpr6_vgpr7
                                        ; implicit-def: $vgpr2_vgpr3
	v_cmpx_ge_f64_e32 0x40418000, v[10:11]
	s_xor_b32 s0, exec_lo, s0
	s_cbranch_execz .LBB0_67
; %bb.62:
	s_mov_b32 s1, exec_lo
                                        ; implicit-def: $vgpr34_vgpr35
	v_cmpx_ge_f64_e32 0x40390000, v[10:11]
	s_xor_b32 s1, exec_lo, s1
	s_cbranch_execz .LBB0_64
; %bb.63:
	s_mov_b32 s2, 0xc7b11de
	s_mov_b32 s3, 0x40d03606
	;; [unrolled: 1-line block ×3, first 2 shown]
	v_div_scale_f64 v[0:1], null, v[10:11], v[10:11], s[2:3]
	s_mov_b32 s6, 0x4cdb917b
	s_mov_b32 s5, 0xbf0400fb
	;; [unrolled: 1-line block ×3, first 2 shown]
	s_delay_alu instid0(VALU_DEP_1) | instskip(SKIP_2) | instid1(VALU_DEP_1)
	v_rcp_f64_e32 v[2:3], v[0:1]
	s_waitcnt_depctr 0xfff
	v_fma_f64 v[4:5], -v[0:1], v[2:3], 1.0
	v_fma_f64 v[2:3], v[2:3], v[4:5], v[2:3]
	v_fma_f64 v[4:5], v[10:11], s[6:7], s[4:5]
	s_mov_b32 s4, 0x831bb559
	s_mov_b32 s5, 0x3f6cc9bd
	s_delay_alu instid0(VALU_DEP_2) | instskip(NEXT) | instid1(VALU_DEP_2)
	v_fma_f64 v[6:7], -v[0:1], v[2:3], 1.0
	v_fma_f64 v[4:5], v[10:11], v[4:5], s[4:5]
	s_mov_b32 s4, 0xcbd73d1d
	s_mov_b32 s5, 0xbfc55122
	s_delay_alu instid0(VALU_DEP_2) | instskip(SKIP_1) | instid1(VALU_DEP_3)
	v_fma_f64 v[2:3], v[2:3], v[6:7], v[2:3]
	v_div_scale_f64 v[6:7], vcc_lo, s[2:3], v[10:11], s[2:3]
	v_fma_f64 v[4:5], v[10:11], v[4:5], s[4:5]
	s_mov_b32 s4, 0x498ee224
	s_mov_b32 s5, 0x40133343
	s_delay_alu instid0(VALU_DEP_2) | instskip(NEXT) | instid1(VALU_DEP_2)
	v_mul_f64 v[14:15], v[6:7], v[2:3]
	v_fma_f64 v[4:5], v[10:11], v[4:5], s[4:5]
	s_mov_b32 s4, 0x110ecaa3
	s_mov_b32 s5, 0xc055d443
	s_delay_alu instid0(VALU_DEP_2) | instskip(NEXT) | instid1(VALU_DEP_2)
	v_fma_f64 v[0:1], -v[0:1], v[14:15], v[6:7]
	v_fma_f64 v[4:5], v[10:11], v[4:5], s[4:5]
	s_mov_b32 s4, 0x11ae71bd
	s_mov_b32 s5, 0x408e8d78
	s_delay_alu instid0(VALU_DEP_2) | instskip(NEXT) | instid1(VALU_DEP_2)
	v_div_fmas_f64 v[0:1], v[0:1], v[2:3], v[14:15]
	v_fma_f64 v[2:3], v[10:11], v[4:5], s[4:5]
	s_delay_alu instid0(VALU_DEP_2) | instskip(SKIP_2) | instid1(VALU_DEP_1)
	v_div_fixup_f64 v[0:1], v[0:1], v[10:11], s[2:3]
	s_mov_b32 s2, 0x6c1bb060
	s_mov_b32 s3, 0xc0b800ca
	v_fma_f64 v[0:1], v[10:11], v[2:3], v[0:1]
	s_delay_alu instid0(VALU_DEP_1)
	v_add_f64 v[34:35], v[0:1], s[2:3]
.LBB0_64:
	s_and_not1_saveexec_b32 s1, s1
	s_cbranch_execz .LBB0_66
; %bb.65:
	s_mov_b32 s2, 0x6624dbe0
	s_mov_b32 s4, 0x3c3a8062
	;; [unrolled: 1-line block ×4, first 2 shown]
	s_delay_alu instid0(SALU_CYCLE_1)
	v_fma_f64 v[0:1], v[10:11], s[4:5], s[2:3]
	s_mov_b32 s2, 0x79524e87
	s_mov_b32 s3, 0x3f2ecfbc
	s_delay_alu instid0(VALU_DEP_1) | instid1(SALU_CYCLE_1)
	v_fma_f64 v[0:1], v[10:11], v[0:1], s[2:3]
	s_mov_b32 s2, 0x289cd2a5
	s_mov_b32 s3, 0xbf6f0844
	s_delay_alu instid0(VALU_DEP_1) | instid1(SALU_CYCLE_1)
	;; [unrolled: 4-line block ×5, first 2 shown]
	v_fma_f64 v[34:35], v[10:11], v[0:1], s[2:3]
.LBB0_66:
	s_or_b32 exec_lo, exec_lo, s1
	s_mov_b32 s2, 0x54442d15
	s_mov_b32 s3, 0x3fe921fb
	;; [unrolled: 1-line block ×3, first 2 shown]
	v_div_scale_f64 v[0:1], null, v[10:11], v[10:11], s[2:3]
	s_mov_b32 s5, 0x3e5ade15
	s_delay_alu instid0(VALU_DEP_1) | instskip(SKIP_2) | instid1(VALU_DEP_1)
	v_rcp_f64_e32 v[2:3], v[0:1]
	s_waitcnt_depctr 0xfff
	v_fma_f64 v[4:5], -v[0:1], v[2:3], 1.0
	v_fma_f64 v[2:3], v[2:3], v[4:5], v[2:3]
	s_delay_alu instid0(VALU_DEP_1) | instskip(NEXT) | instid1(VALU_DEP_1)
	v_fma_f64 v[4:5], -v[0:1], v[2:3], 1.0
	v_fma_f64 v[2:3], v[2:3], v[4:5], v[2:3]
	v_div_scale_f64 v[4:5], vcc_lo, s[2:3], v[10:11], s[2:3]
	s_delay_alu instid0(VALU_DEP_1) | instskip(NEXT) | instid1(VALU_DEP_1)
	v_mul_f64 v[6:7], v[4:5], v[2:3]
	v_fma_f64 v[0:1], -v[0:1], v[6:7], v[4:5]
	s_delay_alu instid0(VALU_DEP_1) | instskip(NEXT) | instid1(VALU_DEP_1)
	v_div_fmas_f64 v[0:1], v[0:1], v[2:3], v[6:7]
	v_div_fixup_f64 v[0:1], v[0:1], v[10:11], s[2:3]
	s_mov_b32 s2, 0x652b82fe
	s_mov_b32 s3, 0xbff71547
	s_delay_alu instid0(VALU_DEP_1) | instskip(SKIP_1) | instid1(VALU_DEP_1)
	v_cmp_gt_f64_e32 vcc_lo, 0x10000000, v[0:1]
	v_cndmask_b32_e64 v2, 0, 1, vcc_lo
	v_lshlrev_b32_e32 v2, 8, v2
	s_delay_alu instid0(VALU_DEP_1) | instskip(NEXT) | instid1(VALU_DEP_1)
	v_ldexp_f64 v[0:1], v[0:1], v2
	v_rsq_f64_e32 v[2:3], v[0:1]
	s_waitcnt_depctr 0xfff
	v_mul_f64 v[4:5], v[0:1], v[2:3]
	v_mul_f64 v[2:3], v[2:3], 0.5
	s_delay_alu instid0(VALU_DEP_1) | instskip(NEXT) | instid1(VALU_DEP_1)
	v_fma_f64 v[6:7], -v[2:3], v[4:5], 0.5
	v_fma_f64 v[4:5], v[4:5], v[6:7], v[4:5]
	v_fma_f64 v[2:3], v[2:3], v[6:7], v[2:3]
	s_delay_alu instid0(VALU_DEP_2) | instskip(NEXT) | instid1(VALU_DEP_1)
	v_fma_f64 v[14:15], -v[4:5], v[4:5], v[0:1]
	v_fma_f64 v[4:5], v[14:15], v[2:3], v[4:5]
	s_delay_alu instid0(VALU_DEP_1) | instskip(NEXT) | instid1(VALU_DEP_1)
	v_fma_f64 v[6:7], -v[4:5], v[4:5], v[0:1]
	v_fma_f64 v[2:3], v[6:7], v[2:3], v[4:5]
	v_cndmask_b32_e64 v4, 0, 0xffffff80, vcc_lo
	v_cmp_class_f64_e64 vcc_lo, v[0:1], 0x260
	s_delay_alu instid0(VALU_DEP_2) | instskip(NEXT) | instid1(VALU_DEP_1)
	v_ldexp_f64 v[2:3], v[2:3], v4
	v_dual_cndmask_b32 v15, v3, v1 :: v_dual_cndmask_b32 v14, v2, v0
	v_mul_f64 v[0:1], v[10:11], s[2:3]
	s_mov_b32 s2, 0xfefa39ef
	s_mov_b32 s3, 0xbfe62e42
	v_cmp_nlt_f64_e32 vcc_lo, 0x4090cc00, v[10:11]
	s_delay_alu instid0(VALU_DEP_2) | instskip(NEXT) | instid1(VALU_DEP_1)
	v_rndne_f64_e32 v[0:1], v[0:1]
	v_fma_f64 v[2:3], v[0:1], s[2:3], -v[10:11]
	s_mov_b32 s2, 0x3b39803f
	s_mov_b32 s3, 0xbc7abc9e
	s_delay_alu instid0(VALU_DEP_1) | instid1(SALU_CYCLE_1)
	v_fma_f64 v[2:3], v[0:1], s[2:3], v[2:3]
	s_mov_b32 s2, 0xfca7ab0c
	s_mov_b32 s3, 0x3e928af3
	v_cvt_i32_f64_e32 v0, v[0:1]
	s_delay_alu instid0(VALU_DEP_2) | instskip(SKIP_4) | instid1(VALU_DEP_1)
	v_fma_f64 v[4:5], v[2:3], s[4:5], s[2:3]
	s_mov_b32 s2, 0x623fde64
	s_mov_b32 s3, 0x3ec71dee
	;; [unrolled: 1-line block ×4, first 2 shown]
	v_fma_f64 v[4:5], v[2:3], v[4:5], s[2:3]
	s_mov_b32 s2, 0x7c89e6b0
	s_mov_b32 s3, 0x3efa0199
	s_delay_alu instid0(VALU_DEP_1) | instid1(SALU_CYCLE_1)
	v_fma_f64 v[4:5], v[2:3], v[4:5], s[2:3]
	s_mov_b32 s2, 0x14761f6e
	s_mov_b32 s3, 0x3f2a01a0
	s_delay_alu instid0(VALU_DEP_1) | instid1(SALU_CYCLE_1)
	;; [unrolled: 4-line block ×7, first 2 shown]
	v_fma_f64 v[4:5], v[2:3], v[4:5], s[2:3]
	s_mov_b32 s2, 0x470dc5ef
	s_mov_b32 s3, 0x3f54d9ff
	s_delay_alu instid0(VALU_DEP_1) | instskip(NEXT) | instid1(VALU_DEP_1)
	v_fma_f64 v[4:5], v[2:3], v[4:5], 1.0
	v_fma_f64 v[2:3], v[2:3], v[4:5], 1.0
	s_delay_alu instid0(VALU_DEP_1) | instskip(NEXT) | instid1(VALU_DEP_1)
	v_ldexp_f64 v[0:1], v[2:3], v0
	v_dual_cndmask_b32 v27, 0, v1 :: v_dual_cndmask_b32 v26, 0, v0
	v_fma_f64 v[0:1], v[10:11], s[4:5], s[2:3]
	s_mov_b32 s2, 0x48e0f48f
	s_mov_b32 s3, 0xbfce548a
	;; [unrolled: 1-line block ×4, first 2 shown]
	v_mul_f64 v[34:35], v[26:27], v[34:35]
	s_delay_alu instid0(VALU_DEP_2)
	v_fma_f64 v[0:1], v[10:11], v[0:1], s[2:3]
	s_mov_b32 s2, 0xcc9d5bf4
	s_mov_b32 s3, 0x402eddba
	s_delay_alu instid0(VALU_DEP_1) | instid1(SALU_CYCLE_1)
	v_fma_f64 v[0:1], v[10:11], v[0:1], s[2:3]
	s_mov_b32 s2, 0xad9d3c3f
	s_mov_b32 s3, 0xc0805664
	s_delay_alu instid0(VALU_DEP_1) | instid1(SALU_CYCLE_1)
	;; [unrolled: 4-line block ×3, first 2 shown]
	v_fma_f64 v[0:1], v[10:11], v[0:1], s[2:3]
	s_mov_b32 s2, 0x2d831142
	s_mov_b32 s3, 0xc14329ce
	s_delay_alu instid0(SALU_CYCLE_1) | instskip(NEXT) | instid1(VALU_DEP_1)
	v_div_scale_f64 v[2:3], null, v[10:11], v[10:11], s[2:3]
	v_rcp_f64_e32 v[4:5], v[2:3]
	s_waitcnt_depctr 0xfff
	v_fma_f64 v[6:7], -v[2:3], v[4:5], 1.0
	s_delay_alu instid0(VALU_DEP_1) | instskip(NEXT) | instid1(VALU_DEP_1)
	v_fma_f64 v[4:5], v[4:5], v[6:7], v[4:5]
	v_fma_f64 v[6:7], -v[2:3], v[4:5], 1.0
	s_delay_alu instid0(VALU_DEP_1) | instskip(SKIP_1) | instid1(VALU_DEP_1)
	v_fma_f64 v[4:5], v[4:5], v[6:7], v[4:5]
	v_div_scale_f64 v[6:7], vcc_lo, s[2:3], v[10:11], s[2:3]
	v_mul_f64 v[48:49], v[6:7], v[4:5]
	s_delay_alu instid0(VALU_DEP_1) | instskip(NEXT) | instid1(VALU_DEP_1)
	v_fma_f64 v[2:3], -v[2:3], v[48:49], v[6:7]
	v_div_fmas_f64 v[2:3], v[2:3], v[4:5], v[48:49]
	s_delay_alu instid0(VALU_DEP_1)
	v_div_fixup_f64 v[2:3], v[2:3], v[10:11], s[2:3]
	s_mov_b32 s2, 0xbf42f4bf
	s_mov_b32 s3, 0x412aa41e
	s_delay_alu instid0(VALU_DEP_1) | instid1(SALU_CYCLE_1)
	v_add_f64 v[2:3], v[2:3], s[2:3]
	s_mov_b32 s2, 0x1e414e3a
	s_mov_b32 s3, 0xc0ff8aa6
	s_delay_alu instid0(VALU_DEP_1) | instskip(NEXT) | instid1(VALU_DEP_1)
	v_div_scale_f64 v[4:5], null, v[10:11], v[10:11], v[2:3]
	v_rcp_f64_e32 v[6:7], v[4:5]
	s_waitcnt_depctr 0xfff
	v_fma_f64 v[48:49], -v[4:5], v[6:7], 1.0
	s_delay_alu instid0(VALU_DEP_1) | instskip(NEXT) | instid1(VALU_DEP_1)
	v_fma_f64 v[6:7], v[6:7], v[48:49], v[6:7]
	v_fma_f64 v[48:49], -v[4:5], v[6:7], 1.0
	s_delay_alu instid0(VALU_DEP_1) | instskip(SKIP_1) | instid1(VALU_DEP_1)
	v_fma_f64 v[6:7], v[6:7], v[48:49], v[6:7]
	v_div_scale_f64 v[48:49], vcc_lo, v[2:3], v[10:11], v[2:3]
	v_mul_f64 v[50:51], v[48:49], v[6:7]
	s_delay_alu instid0(VALU_DEP_1) | instskip(NEXT) | instid1(VALU_DEP_1)
	v_fma_f64 v[4:5], -v[4:5], v[50:51], v[48:49]
	v_div_fmas_f64 v[4:5], v[4:5], v[6:7], v[50:51]
	s_delay_alu instid0(VALU_DEP_1) | instskip(NEXT) | instid1(VALU_DEP_1)
	v_div_fixup_f64 v[2:3], v[4:5], v[10:11], v[2:3]
	v_fma_f64 v[0:1], v[10:11], v[0:1], v[2:3]
	s_delay_alu instid0(VALU_DEP_1) | instskip(SKIP_2) | instid1(SALU_CYCLE_1)
	v_add_f64 v[0:1], v[0:1], s[2:3]
	s_mov_b32 s3, 0xbfc2994e
	s_mov_b32 s2, 0x486cd916
	v_add_f64 v[2:3], v[10:11], s[2:3]
	s_mov_b32 s3, 0x3fc2994e
	s_delay_alu instid0(VALU_DEP_1) | instid1(SALU_CYCLE_1)
	v_div_scale_f64 v[4:5], null, v[2:3], v[2:3], s[2:3]
	s_delay_alu instid0(VALU_DEP_1) | instskip(SKIP_2) | instid1(VALU_DEP_1)
	v_rcp_f64_e32 v[6:7], v[4:5]
	s_waitcnt_depctr 0xfff
	v_fma_f64 v[48:49], -v[4:5], v[6:7], 1.0
	v_fma_f64 v[6:7], v[6:7], v[48:49], v[6:7]
	s_delay_alu instid0(VALU_DEP_1) | instskip(NEXT) | instid1(VALU_DEP_1)
	v_fma_f64 v[48:49], -v[4:5], v[6:7], 1.0
	v_fma_f64 v[6:7], v[6:7], v[48:49], v[6:7]
	v_div_scale_f64 v[48:49], vcc_lo, s[2:3], v[2:3], s[2:3]
	s_delay_alu instid0(VALU_DEP_1) | instskip(NEXT) | instid1(VALU_DEP_1)
	v_mul_f64 v[50:51], v[48:49], v[6:7]
	v_fma_f64 v[4:5], -v[4:5], v[50:51], v[48:49]
	s_delay_alu instid0(VALU_DEP_1) | instskip(NEXT) | instid1(VALU_DEP_1)
	v_div_fmas_f64 v[4:5], v[4:5], v[6:7], v[50:51]
	v_div_fixup_f64 v[2:3], v[4:5], v[2:3], s[2:3]
	s_mov_b32 s2, 0xb4241f23
	s_mov_b32 s3, 0x40196d17
	s_delay_alu instid0(VALU_DEP_1)
	v_fma_f64 v[0:1], v[0:1], v[26:27], v[2:3]
	v_fma_f64 v[2:3], v[10:11], s[4:5], s[2:3]
	s_mov_b32 s2, 0x42dc8407
	s_mov_b32 s3, 0xc07524c0
	;; [unrolled: 1-line block ×4, first 2 shown]
	s_delay_alu instid0(VALU_DEP_1)
	v_fma_f64 v[2:3], v[10:11], v[2:3], s[2:3]
	s_mov_b32 s2, 0x58a4f161
	s_mov_b32 s3, 0x40c87006
	s_delay_alu instid0(VALU_DEP_1) | instid1(SALU_CYCLE_1)
	v_fma_f64 v[2:3], v[10:11], v[2:3], s[2:3]
	s_mov_b32 s2, 0x483433dc
	s_mov_b32 s3, 0xc11356be
	s_delay_alu instid0(VALU_DEP_1) | instid1(SALU_CYCLE_1)
	v_fma_f64 v[2:3], v[10:11], v[2:3], s[2:3]
	s_mov_b32 s2, 0x72a31b48
	s_mov_b32 s3, 0xc1ce8698
	s_delay_alu instid0(SALU_CYCLE_1) | instskip(NEXT) | instid1(VALU_DEP_1)
	v_div_scale_f64 v[4:5], null, v[10:11], v[10:11], s[2:3]
	v_rcp_f64_e32 v[6:7], v[4:5]
	s_waitcnt_depctr 0xfff
	v_fma_f64 v[48:49], -v[4:5], v[6:7], 1.0
	s_delay_alu instid0(VALU_DEP_1) | instskip(NEXT) | instid1(VALU_DEP_1)
	v_fma_f64 v[6:7], v[6:7], v[48:49], v[6:7]
	v_fma_f64 v[48:49], -v[4:5], v[6:7], 1.0
	s_delay_alu instid0(VALU_DEP_1) | instskip(SKIP_1) | instid1(VALU_DEP_1)
	v_fma_f64 v[6:7], v[6:7], v[48:49], v[6:7]
	v_div_scale_f64 v[48:49], vcc_lo, s[2:3], v[10:11], s[2:3]
	v_mul_f64 v[50:51], v[48:49], v[6:7]
	s_delay_alu instid0(VALU_DEP_1) | instskip(NEXT) | instid1(VALU_DEP_1)
	v_fma_f64 v[4:5], -v[4:5], v[50:51], v[48:49]
	v_div_fmas_f64 v[4:5], v[4:5], v[6:7], v[50:51]
	s_delay_alu instid0(VALU_DEP_1)
	v_div_fixup_f64 v[4:5], v[4:5], v[10:11], s[2:3]
	s_mov_b32 s2, 0x894b0319
	s_mov_b32 s3, 0x41b60f59
	s_delay_alu instid0(VALU_DEP_1) | instid1(SALU_CYCLE_1)
	v_add_f64 v[4:5], v[4:5], s[2:3]
	s_mov_b32 s2, 0xe41336fa
	s_mov_b32 s3, 0xc18bfefa
	s_delay_alu instid0(VALU_DEP_1) | instskip(NEXT) | instid1(VALU_DEP_1)
	v_div_scale_f64 v[6:7], null, v[10:11], v[10:11], v[4:5]
	v_rcp_f64_e32 v[48:49], v[6:7]
	s_waitcnt_depctr 0xfff
	v_fma_f64 v[50:51], -v[6:7], v[48:49], 1.0
	s_delay_alu instid0(VALU_DEP_1) | instskip(NEXT) | instid1(VALU_DEP_1)
	v_fma_f64 v[48:49], v[48:49], v[50:51], v[48:49]
	v_fma_f64 v[50:51], -v[6:7], v[48:49], 1.0
	s_delay_alu instid0(VALU_DEP_1) | instskip(SKIP_1) | instid1(VALU_DEP_1)
	v_fma_f64 v[48:49], v[48:49], v[50:51], v[48:49]
	v_div_scale_f64 v[50:51], vcc_lo, v[4:5], v[10:11], v[4:5]
	v_mul_f64 v[52:53], v[50:51], v[48:49]
	s_delay_alu instid0(VALU_DEP_1) | instskip(NEXT) | instid1(VALU_DEP_1)
	v_fma_f64 v[6:7], -v[6:7], v[52:53], v[50:51]
	v_div_fmas_f64 v[6:7], v[6:7], v[48:49], v[52:53]
	s_delay_alu instid0(VALU_DEP_1) | instskip(NEXT) | instid1(VALU_DEP_1)
	v_div_fixup_f64 v[4:5], v[6:7], v[10:11], v[4:5]
	v_add_f64 v[4:5], v[4:5], s[2:3]
	s_mov_b32 s2, 0x874a6681
	s_mov_b32 s3, 0x41548be7
	s_delay_alu instid0(VALU_DEP_1) | instskip(NEXT) | instid1(VALU_DEP_1)
	v_div_scale_f64 v[6:7], null, v[10:11], v[10:11], v[4:5]
	v_rcp_f64_e32 v[48:49], v[6:7]
	s_waitcnt_depctr 0xfff
	v_fma_f64 v[50:51], -v[6:7], v[48:49], 1.0
	s_delay_alu instid0(VALU_DEP_1) | instskip(NEXT) | instid1(VALU_DEP_1)
	v_fma_f64 v[48:49], v[48:49], v[50:51], v[48:49]
	v_fma_f64 v[50:51], -v[6:7], v[48:49], 1.0
	s_delay_alu instid0(VALU_DEP_1) | instskip(SKIP_1) | instid1(VALU_DEP_1)
	v_fma_f64 v[48:49], v[48:49], v[50:51], v[48:49]
	v_div_scale_f64 v[50:51], vcc_lo, v[4:5], v[10:11], v[4:5]
	v_mul_f64 v[52:53], v[50:51], v[48:49]
	s_delay_alu instid0(VALU_DEP_1) | instskip(NEXT) | instid1(VALU_DEP_1)
	v_fma_f64 v[6:7], -v[6:7], v[52:53], v[50:51]
	v_div_fmas_f64 v[6:7], v[6:7], v[48:49], v[52:53]
	s_delay_alu instid0(VALU_DEP_1) | instskip(NEXT) | instid1(VALU_DEP_1)
	v_div_fixup_f64 v[4:5], v[6:7], v[10:11], v[4:5]
	v_fma_f64 v[2:3], v[10:11], v[2:3], v[4:5]
	s_delay_alu instid0(VALU_DEP_1) | instskip(SKIP_2) | instid1(SALU_CYCLE_1)
	v_add_f64 v[2:3], v[2:3], s[2:3]
	s_mov_b32 s3, 0xbff56cf1
	s_mov_b32 s2, 0x472aa3dd
	v_add_f64 v[4:5], v[10:11], s[2:3]
	s_mov_b32 s3, 0x3ff56cf1
	s_delay_alu instid0(VALU_DEP_1) | instid1(SALU_CYCLE_1)
	v_div_scale_f64 v[6:7], null, v[4:5], v[4:5], s[2:3]
	s_delay_alu instid0(VALU_DEP_1) | instskip(SKIP_2) | instid1(VALU_DEP_1)
	v_rcp_f64_e32 v[48:49], v[6:7]
	s_waitcnt_depctr 0xfff
	v_fma_f64 v[50:51], -v[6:7], v[48:49], 1.0
	v_fma_f64 v[48:49], v[48:49], v[50:51], v[48:49]
	s_delay_alu instid0(VALU_DEP_1) | instskip(NEXT) | instid1(VALU_DEP_1)
	v_fma_f64 v[50:51], -v[6:7], v[48:49], 1.0
	v_fma_f64 v[48:49], v[48:49], v[50:51], v[48:49]
	v_div_scale_f64 v[50:51], vcc_lo, s[2:3], v[4:5], s[2:3]
	s_delay_alu instid0(VALU_DEP_1) | instskip(NEXT) | instid1(VALU_DEP_1)
	v_mul_f64 v[52:53], v[50:51], v[48:49]
	v_fma_f64 v[6:7], -v[6:7], v[52:53], v[50:51]
	s_delay_alu instid0(VALU_DEP_1) | instskip(NEXT) | instid1(VALU_DEP_1)
	v_div_fmas_f64 v[6:7], v[6:7], v[48:49], v[52:53]
	v_div_fixup_f64 v[4:5], v[6:7], v[4:5], s[2:3]
	s_mov_b32 s2, 0x25cefe33
	s_mov_b32 s3, 0x40326987
	s_delay_alu instid0(VALU_DEP_1)
	v_fma_f64 v[2:3], v[2:3], v[26:27], v[4:5]
	v_fma_f64 v[4:5], v[10:11], s[4:5], s[2:3]
	s_mov_b32 s2, 0xfa23cf3d
	s_mov_b32 s3, 0xc08f500e
	;; [unrolled: 1-line block ×4, first 2 shown]
	s_delay_alu instid0(VALU_DEP_1)
	v_fma_f64 v[4:5], v[10:11], v[4:5], s[2:3]
	s_mov_b32 s2, 0xe4a29e3b
	s_mov_b32 s3, 0x40e25165
	s_delay_alu instid0(VALU_DEP_1) | instid1(SALU_CYCLE_1)
	v_fma_f64 v[4:5], v[10:11], v[4:5], s[2:3]
	s_mov_b32 s2, 0x53a7df02
	s_mov_b32 s3, 0xc12d02c5
	s_delay_alu instid0(VALU_DEP_1) | instid1(SALU_CYCLE_1)
	v_fma_f64 v[4:5], v[10:11], v[4:5], s[2:3]
	s_mov_b32 s2, 0xc850a29c
	s_mov_b32 s3, 0xc1e577d0
	s_delay_alu instid0(SALU_CYCLE_1) | instskip(NEXT) | instid1(VALU_DEP_1)
	v_div_scale_f64 v[6:7], null, v[10:11], v[10:11], s[2:3]
	v_rcp_f64_e32 v[48:49], v[6:7]
	s_waitcnt_depctr 0xfff
	v_fma_f64 v[50:51], -v[6:7], v[48:49], 1.0
	s_delay_alu instid0(VALU_DEP_1) | instskip(NEXT) | instid1(VALU_DEP_1)
	v_fma_f64 v[48:49], v[48:49], v[50:51], v[48:49]
	v_fma_f64 v[50:51], -v[6:7], v[48:49], 1.0
	s_delay_alu instid0(VALU_DEP_1) | instskip(SKIP_1) | instid1(VALU_DEP_1)
	v_fma_f64 v[48:49], v[48:49], v[50:51], v[48:49]
	v_div_scale_f64 v[50:51], vcc_lo, s[2:3], v[10:11], s[2:3]
	v_mul_f64 v[52:53], v[50:51], v[48:49]
	s_delay_alu instid0(VALU_DEP_1) | instskip(NEXT) | instid1(VALU_DEP_1)
	v_fma_f64 v[6:7], -v[6:7], v[52:53], v[50:51]
	v_div_fmas_f64 v[6:7], v[6:7], v[48:49], v[52:53]
	s_delay_alu instid0(VALU_DEP_1)
	v_div_fixup_f64 v[6:7], v[6:7], v[10:11], s[2:3]
	s_mov_b32 s2, 0x6738fe48
	s_mov_b32 s3, 0x41cfc6e9
	s_delay_alu instid0(VALU_DEP_1) | instid1(SALU_CYCLE_1)
	v_add_f64 v[6:7], v[6:7], s[2:3]
	s_mov_b32 s2, 0x135ff25e
	s_mov_b32 s3, 0xc1a48f39
	s_delay_alu instid0(VALU_DEP_1) | instskip(NEXT) | instid1(VALU_DEP_1)
	v_div_scale_f64 v[48:49], null, v[10:11], v[10:11], v[6:7]
	v_rcp_f64_e32 v[50:51], v[48:49]
	s_waitcnt_depctr 0xfff
	v_fma_f64 v[52:53], -v[48:49], v[50:51], 1.0
	s_delay_alu instid0(VALU_DEP_1) | instskip(NEXT) | instid1(VALU_DEP_1)
	v_fma_f64 v[50:51], v[50:51], v[52:53], v[50:51]
	v_fma_f64 v[52:53], -v[48:49], v[50:51], 1.0
	s_delay_alu instid0(VALU_DEP_1) | instskip(SKIP_1) | instid1(VALU_DEP_1)
	v_fma_f64 v[50:51], v[50:51], v[52:53], v[50:51]
	v_div_scale_f64 v[52:53], vcc_lo, v[6:7], v[10:11], v[6:7]
	v_mul_f64 v[54:55], v[52:53], v[50:51]
	s_delay_alu instid0(VALU_DEP_1) | instskip(NEXT) | instid1(VALU_DEP_1)
	v_fma_f64 v[48:49], -v[48:49], v[54:55], v[52:53]
	v_div_fmas_f64 v[48:49], v[48:49], v[50:51], v[54:55]
	s_delay_alu instid0(VALU_DEP_1) | instskip(NEXT) | instid1(VALU_DEP_1)
	v_div_fixup_f64 v[6:7], v[48:49], v[10:11], v[6:7]
	v_add_f64 v[6:7], v[6:7], s[2:3]
	s_mov_b32 s2, 0x60bc7608
	s_mov_b32 s3, 0x416e98fa
	s_delay_alu instid0(VALU_DEP_1) | instskip(NEXT) | instid1(VALU_DEP_1)
	v_div_scale_f64 v[48:49], null, v[10:11], v[10:11], v[6:7]
	v_rcp_f64_e32 v[50:51], v[48:49]
	s_waitcnt_depctr 0xfff
	v_fma_f64 v[52:53], -v[48:49], v[50:51], 1.0
	s_delay_alu instid0(VALU_DEP_1) | instskip(NEXT) | instid1(VALU_DEP_1)
	v_fma_f64 v[50:51], v[50:51], v[52:53], v[50:51]
	v_fma_f64 v[52:53], -v[48:49], v[50:51], 1.0
	s_delay_alu instid0(VALU_DEP_1) | instskip(SKIP_1) | instid1(VALU_DEP_1)
	v_fma_f64 v[50:51], v[50:51], v[52:53], v[50:51]
	v_div_scale_f64 v[52:53], vcc_lo, v[6:7], v[10:11], v[6:7]
	v_mul_f64 v[54:55], v[52:53], v[50:51]
	s_delay_alu instid0(VALU_DEP_1) | instskip(NEXT) | instid1(VALU_DEP_1)
	v_fma_f64 v[48:49], -v[48:49], v[54:55], v[52:53]
	v_div_fmas_f64 v[48:49], v[48:49], v[50:51], v[54:55]
	s_delay_alu instid0(VALU_DEP_1) | instskip(NEXT) | instid1(VALU_DEP_1)
	v_div_fixup_f64 v[6:7], v[48:49], v[10:11], v[6:7]
	v_fma_f64 v[4:5], v[10:11], v[4:5], v[6:7]
	s_delay_alu instid0(VALU_DEP_1) | instskip(SKIP_2) | instid1(SALU_CYCLE_1)
	v_add_f64 v[4:5], v[4:5], s[2:3]
	s_mov_b32 s3, 0xc00f6a6b
	s_mov_b32 s2, 0xd7175b27
	v_add_f64 v[6:7], v[10:11], s[2:3]
	s_mov_b32 s3, 0x400f6a6b
	s_delay_alu instid0(VALU_DEP_1) | instid1(SALU_CYCLE_1)
	v_div_scale_f64 v[48:49], null, v[6:7], v[6:7], s[2:3]
	s_delay_alu instid0(VALU_DEP_1) | instskip(SKIP_2) | instid1(VALU_DEP_1)
	v_rcp_f64_e32 v[50:51], v[48:49]
	s_waitcnt_depctr 0xfff
	v_fma_f64 v[52:53], -v[48:49], v[50:51], 1.0
	v_fma_f64 v[50:51], v[50:51], v[52:53], v[50:51]
	s_delay_alu instid0(VALU_DEP_1) | instskip(NEXT) | instid1(VALU_DEP_1)
	v_fma_f64 v[52:53], -v[48:49], v[50:51], 1.0
	v_fma_f64 v[50:51], v[50:51], v[52:53], v[50:51]
	v_div_scale_f64 v[52:53], vcc_lo, s[2:3], v[6:7], s[2:3]
	s_delay_alu instid0(VALU_DEP_1) | instskip(NEXT) | instid1(VALU_DEP_1)
	v_mul_f64 v[54:55], v[52:53], v[50:51]
	v_fma_f64 v[48:49], -v[48:49], v[54:55], v[52:53]
	s_delay_alu instid0(VALU_DEP_1) | instskip(NEXT) | instid1(VALU_DEP_1)
	v_div_fmas_f64 v[48:49], v[48:49], v[50:51], v[54:55]
	v_div_fixup_f64 v[6:7], v[48:49], v[6:7], s[2:3]
	s_mov_b32 s2, 0x3d287e7
	s_mov_b32 s3, 0xbfd753a2
	s_delay_alu instid0(VALU_DEP_1)
	v_fma_f64 v[4:5], v[4:5], v[26:27], v[6:7]
	v_fma_f64 v[6:7], v[10:11], s[4:5], s[2:3]
	s_mov_b32 s2, 0x4c53000c
	s_mov_b32 s3, 0x402f7fcd
	;; [unrolled: 1-line block ×4, first 2 shown]
	s_delay_alu instid0(VALU_DEP_1)
	v_fma_f64 v[6:7], v[10:11], v[6:7], s[2:3]
	s_mov_b32 s2, 0xd247dd83
	s_mov_b32 s3, 0xc084778d
	s_delay_alu instid0(VALU_DEP_1) | instid1(SALU_CYCLE_1)
	v_fma_f64 v[6:7], v[10:11], v[6:7], s[2:3]
	s_mov_b32 s2, 0x40e039ea
	s_mov_b32 s3, 0x40d0aec0
	s_delay_alu instid0(VALU_DEP_1) | instid1(SALU_CYCLE_1)
	;; [unrolled: 4-line block ×3, first 2 shown]
	v_fma_f64 v[6:7], v[10:11], v[6:7], s[2:3]
	s_mov_b32 s2, 0x8ea4cf22
	s_mov_b32 s3, 0x4180a4fb
	s_delay_alu instid0(SALU_CYCLE_1) | instskip(NEXT) | instid1(VALU_DEP_1)
	v_div_scale_f64 v[48:49], null, v[10:11], v[10:11], s[2:3]
	v_rcp_f64_e32 v[50:51], v[48:49]
	s_waitcnt_depctr 0xfff
	v_fma_f64 v[52:53], -v[48:49], v[50:51], 1.0
	s_delay_alu instid0(VALU_DEP_1) | instskip(NEXT) | instid1(VALU_DEP_1)
	v_fma_f64 v[50:51], v[50:51], v[52:53], v[50:51]
	v_fma_f64 v[52:53], -v[48:49], v[50:51], 1.0
	s_delay_alu instid0(VALU_DEP_1) | instskip(SKIP_1) | instid1(VALU_DEP_1)
	v_fma_f64 v[50:51], v[50:51], v[52:53], v[50:51]
	v_div_scale_f64 v[52:53], vcc_lo, s[2:3], v[10:11], s[2:3]
	v_mul_f64 v[54:55], v[52:53], v[50:51]
	s_delay_alu instid0(VALU_DEP_1) | instskip(NEXT) | instid1(VALU_DEP_1)
	v_fma_f64 v[48:49], -v[48:49], v[54:55], v[52:53]
	v_div_fmas_f64 v[48:49], v[48:49], v[50:51], v[54:55]
	s_delay_alu instid0(VALU_DEP_1)
	v_div_fixup_f64 v[48:49], v[48:49], v[10:11], s[2:3]
	s_mov_b32 s2, 0x88468124
	s_mov_b32 s3, 0xc16f75ee
	s_delay_alu instid0(VALU_DEP_1) | instid1(SALU_CYCLE_1)
	v_add_f64 v[48:49], v[48:49], s[2:3]
	s_mov_b32 s2, 0xb3692b7d
	s_mov_b32 s3, 0x4146a539
	s_delay_alu instid0(VALU_DEP_1) | instskip(NEXT) | instid1(VALU_DEP_1)
	v_div_scale_f64 v[50:51], null, v[10:11], v[10:11], v[48:49]
	v_rcp_f64_e32 v[52:53], v[50:51]
	s_waitcnt_depctr 0xfff
	v_fma_f64 v[54:55], -v[50:51], v[52:53], 1.0
	s_delay_alu instid0(VALU_DEP_1) | instskip(NEXT) | instid1(VALU_DEP_1)
	v_fma_f64 v[52:53], v[52:53], v[54:55], v[52:53]
	v_fma_f64 v[54:55], -v[50:51], v[52:53], 1.0
	s_delay_alu instid0(VALU_DEP_1) | instskip(SKIP_1) | instid1(VALU_DEP_1)
	v_fma_f64 v[52:53], v[52:53], v[54:55], v[52:53]
	v_div_scale_f64 v[54:55], vcc_lo, v[48:49], v[10:11], v[48:49]
	v_mul_f64 v[113:114], v[54:55], v[52:53]
	s_delay_alu instid0(VALU_DEP_1) | instskip(NEXT) | instid1(VALU_DEP_1)
	v_fma_f64 v[50:51], -v[50:51], v[113:114], v[54:55]
	v_div_fmas_f64 v[50:51], v[50:51], v[52:53], v[113:114]
	s_delay_alu instid0(VALU_DEP_1) | instskip(NEXT) | instid1(VALU_DEP_1)
	v_div_fixup_f64 v[48:49], v[50:51], v[10:11], v[48:49]
	v_fma_f64 v[6:7], v[10:11], v[6:7], v[48:49]
	s_delay_alu instid0(VALU_DEP_1) | instskip(SKIP_2) | instid1(SALU_CYCLE_1)
	v_add_f64 v[6:7], v[6:7], s[2:3]
	s_mov_b32 s3, 0xc0212d61
	s_mov_b32 s2, 0xa833213e
	v_add_f64 v[48:49], v[10:11], s[2:3]
	s_mov_b32 s3, 0x40212d61
	s_delay_alu instid0(VALU_DEP_1) | instid1(SALU_CYCLE_1)
	v_div_scale_f64 v[50:51], null, v[48:49], v[48:49], s[2:3]
	s_delay_alu instid0(VALU_DEP_1) | instskip(SKIP_2) | instid1(VALU_DEP_1)
	v_rcp_f64_e32 v[52:53], v[50:51]
	s_waitcnt_depctr 0xfff
	v_fma_f64 v[54:55], -v[50:51], v[52:53], 1.0
	v_fma_f64 v[52:53], v[52:53], v[54:55], v[52:53]
	s_delay_alu instid0(VALU_DEP_1) | instskip(NEXT) | instid1(VALU_DEP_1)
	v_fma_f64 v[54:55], -v[50:51], v[52:53], 1.0
	v_fma_f64 v[52:53], v[52:53], v[54:55], v[52:53]
	v_div_scale_f64 v[54:55], vcc_lo, s[2:3], v[48:49], s[2:3]
	s_delay_alu instid0(VALU_DEP_1) | instskip(NEXT) | instid1(VALU_DEP_1)
	v_mul_f64 v[113:114], v[54:55], v[52:53]
	v_fma_f64 v[50:51], -v[50:51], v[113:114], v[54:55]
	s_delay_alu instid0(VALU_DEP_1) | instskip(NEXT) | instid1(VALU_DEP_1)
	v_div_fmas_f64 v[50:51], v[50:51], v[52:53], v[113:114]
	v_div_fixup_f64 v[48:49], v[50:51], v[48:49], s[2:3]
	s_mov_b32 s2, 0x999f3b2
	s_mov_b32 s3, 0x3f2d856f
	s_delay_alu instid0(SALU_CYCLE_1) | instskip(SKIP_2) | instid1(SALU_CYCLE_1)
	v_fma_f64 v[50:51], v[14:15], s[2:3], v[34:35]
	s_mov_b32 s2, 0x73858adf
	s_mov_b32 s3, 0xbf82c698
	v_fma_f64 v[34:35], v[10:11], s[4:5], s[2:3]
	s_mov_b32 s2, 0xca6d13a7
	s_mov_b32 s3, 0x3fdd9476
	;; [unrolled: 1-line block ×4, first 2 shown]
	s_delay_alu instid0(VALU_DEP_3) | instskip(NEXT) | instid1(VALU_DEP_2)
	v_fma_f64 v[6:7], v[6:7], v[26:27], v[48:49]
	v_fma_f64 v[34:35], v[10:11], v[34:35], s[2:3]
	s_mov_b32 s2, 0xcbc4d9e7
	s_mov_b32 s3, 0xc033b1c2
	s_delay_alu instid0(VALU_DEP_1) | instid1(SALU_CYCLE_1)
	v_fma_f64 v[34:35], v[10:11], v[34:35], s[2:3]
	s_mov_b32 s2, 0x6205102
	s_mov_b32 s3, 0x407f32b5
	s_delay_alu instid0(VALU_DEP_1) | instid1(SALU_CYCLE_1)
	v_fma_f64 v[34:35], v[10:11], v[34:35], s[2:3]
	s_mov_b32 s2, 0xce2c4c3b
	s_mov_b32 s3, 0xc0b84632
	s_delay_alu instid0(VALU_DEP_1) | instid1(SALU_CYCLE_1)
	v_fma_f64 v[34:35], v[10:11], v[34:35], s[2:3]
	s_mov_b32 s2, 0xca91e703
	s_mov_b32 s3, 0x4188dd4b
	s_delay_alu instid0(SALU_CYCLE_1) | instskip(NEXT) | instid1(VALU_DEP_1)
	v_div_scale_f64 v[48:49], null, v[10:11], v[10:11], s[2:3]
	v_rcp_f64_e32 v[52:53], v[48:49]
	s_waitcnt_depctr 0xfff
	v_fma_f64 v[54:55], -v[48:49], v[52:53], 1.0
	s_delay_alu instid0(VALU_DEP_1) | instskip(NEXT) | instid1(VALU_DEP_1)
	v_fma_f64 v[52:53], v[52:53], v[54:55], v[52:53]
	v_fma_f64 v[54:55], -v[48:49], v[52:53], 1.0
	s_delay_alu instid0(VALU_DEP_1) | instskip(SKIP_1) | instid1(VALU_DEP_1)
	v_fma_f64 v[52:53], v[52:53], v[54:55], v[52:53]
	v_div_scale_f64 v[54:55], vcc_lo, s[2:3], v[10:11], s[2:3]
	v_mul_f64 v[113:114], v[54:55], v[52:53]
	s_delay_alu instid0(VALU_DEP_1) | instskip(NEXT) | instid1(VALU_DEP_1)
	v_fma_f64 v[48:49], -v[48:49], v[113:114], v[54:55]
	v_div_fmas_f64 v[48:49], v[48:49], v[52:53], v[113:114]
	s_delay_alu instid0(VALU_DEP_1)
	v_div_fixup_f64 v[48:49], v[48:49], v[10:11], s[2:3]
	s_mov_b32 s2, 0x4e0bb8d1
	s_mov_b32 s3, 0xc1699482
	s_delay_alu instid0(VALU_DEP_1) | instid1(SALU_CYCLE_1)
	v_add_f64 v[48:49], v[48:49], s[2:3]
	s_mov_b32 s2, 0xfba9940e
	s_mov_b32 s3, 0x4131585c
	s_delay_alu instid0(VALU_DEP_1) | instskip(NEXT) | instid1(VALU_DEP_1)
	v_div_scale_f64 v[52:53], null, v[10:11], v[10:11], v[48:49]
	v_rcp_f64_e32 v[54:55], v[52:53]
	s_waitcnt_depctr 0xfff
	v_fma_f64 v[113:114], -v[52:53], v[54:55], 1.0
	s_delay_alu instid0(VALU_DEP_1) | instskip(NEXT) | instid1(VALU_DEP_1)
	v_fma_f64 v[54:55], v[54:55], v[113:114], v[54:55]
	v_fma_f64 v[113:114], -v[52:53], v[54:55], 1.0
	s_delay_alu instid0(VALU_DEP_1) | instskip(SKIP_1) | instid1(VALU_DEP_1)
	v_fma_f64 v[54:55], v[54:55], v[113:114], v[54:55]
	v_div_scale_f64 v[113:114], vcc_lo, v[48:49], v[10:11], v[48:49]
	v_mul_f64 v[115:116], v[113:114], v[54:55]
	s_delay_alu instid0(VALU_DEP_1) | instskip(NEXT) | instid1(VALU_DEP_1)
	v_fma_f64 v[52:53], -v[52:53], v[115:116], v[113:114]
	v_div_fmas_f64 v[52:53], v[52:53], v[54:55], v[115:116]
	s_delay_alu instid0(VALU_DEP_1) | instskip(NEXT) | instid1(VALU_DEP_1)
	v_div_fixup_f64 v[48:49], v[52:53], v[10:11], v[48:49]
	v_add_f64 v[48:49], v[48:49], s[2:3]
	s_mov_b32 s2, 0xd53b761
	s_mov_b32 s3, 0xc0a5fe06
	s_delay_alu instid0(VALU_DEP_1) | instskip(NEXT) | instid1(VALU_DEP_1)
	v_div_scale_f64 v[52:53], null, v[10:11], v[10:11], v[48:49]
	v_rcp_f64_e32 v[54:55], v[52:53]
	s_waitcnt_depctr 0xfff
	v_fma_f64 v[113:114], -v[52:53], v[54:55], 1.0
	s_delay_alu instid0(VALU_DEP_1) | instskip(NEXT) | instid1(VALU_DEP_1)
	v_fma_f64 v[54:55], v[54:55], v[113:114], v[54:55]
	v_fma_f64 v[113:114], -v[52:53], v[54:55], 1.0
	s_delay_alu instid0(VALU_DEP_1) | instskip(SKIP_1) | instid1(VALU_DEP_1)
	v_fma_f64 v[54:55], v[54:55], v[113:114], v[54:55]
	v_div_scale_f64 v[113:114], vcc_lo, v[48:49], v[10:11], v[48:49]
	v_mul_f64 v[115:116], v[113:114], v[54:55]
	s_delay_alu instid0(VALU_DEP_1) | instskip(NEXT) | instid1(VALU_DEP_1)
	v_fma_f64 v[52:53], -v[52:53], v[115:116], v[113:114]
	v_div_fmas_f64 v[52:53], v[52:53], v[54:55], v[115:116]
	s_delay_alu instid0(VALU_DEP_1) | instskip(NEXT) | instid1(VALU_DEP_1)
	v_div_fixup_f64 v[48:49], v[52:53], v[10:11], v[48:49]
	v_fma_f64 v[34:35], v[10:11], v[34:35], v[48:49]
	s_delay_alu instid0(VALU_DEP_1) | instskip(SKIP_2) | instid1(VALU_DEP_1)
	v_add_f64 v[34:35], v[34:35], s[2:3]
	s_mov_b32 s2, 0x5a77e739
	s_mov_b32 s3, 0x3f93bba1
	v_mul_f64 v[34:35], v[34:35], v[26:27]
	s_delay_alu instid0(VALU_DEP_1) | instskip(SKIP_2) | instid1(SALU_CYCLE_1)
	v_fma_f64 v[48:49], v[14:15], s[2:3], v[34:35]
	s_mov_b32 s2, 0xdb9a5984
	s_mov_b32 s3, 0xbfa21ea1
	v_fma_f64 v[34:35], v[10:11], s[4:5], s[2:3]
	s_mov_b32 s2, 0xf7a451f9
	s_mov_b32 s3, 0x40009fb0
	s_delay_alu instid0(VALU_DEP_1) | instid1(SALU_CYCLE_1)
	v_fma_f64 v[34:35], v[10:11], v[34:35], s[2:3]
	s_mov_b32 s2, 0xce1d8ef7
	s_mov_b32 s3, 0xc0591dbd
	s_delay_alu instid0(VALU_DEP_1) | instid1(SALU_CYCLE_1)
	;; [unrolled: 4-line block ×4, first 2 shown]
	v_fma_f64 v[34:35], v[10:11], v[34:35], s[2:3]
	s_mov_b32 s2, 0x940c38be
	s_mov_b32 s3, 0x416d82bf
	s_delay_alu instid0(SALU_CYCLE_1) | instskip(NEXT) | instid1(VALU_DEP_1)
	v_div_scale_f64 v[52:53], null, v[10:11], v[10:11], s[2:3]
	v_rcp_f64_e32 v[54:55], v[52:53]
	s_waitcnt_depctr 0xfff
	v_fma_f64 v[113:114], -v[52:53], v[54:55], 1.0
	s_delay_alu instid0(VALU_DEP_1) | instskip(NEXT) | instid1(VALU_DEP_1)
	v_fma_f64 v[54:55], v[54:55], v[113:114], v[54:55]
	v_fma_f64 v[113:114], -v[52:53], v[54:55], 1.0
	s_delay_alu instid0(VALU_DEP_1) | instskip(SKIP_1) | instid1(VALU_DEP_1)
	v_fma_f64 v[54:55], v[54:55], v[113:114], v[54:55]
	v_div_scale_f64 v[113:114], vcc_lo, s[2:3], v[10:11], s[2:3]
	v_mul_f64 v[115:116], v[113:114], v[54:55]
	s_delay_alu instid0(VALU_DEP_1) | instskip(NEXT) | instid1(VALU_DEP_1)
	v_fma_f64 v[52:53], -v[52:53], v[115:116], v[113:114]
	v_div_fmas_f64 v[52:53], v[52:53], v[54:55], v[115:116]
	s_delay_alu instid0(VALU_DEP_1)
	v_div_fixup_f64 v[52:53], v[52:53], v[10:11], s[2:3]
	s_mov_b32 s2, 0xfa71469f
	s_mov_b32 s3, 0xc1541171
	s_delay_alu instid0(VALU_DEP_1) | instid1(SALU_CYCLE_1)
	v_add_f64 v[52:53], v[52:53], s[2:3]
	s_mov_b32 s2, 0xcd4be3bf
	s_mov_b32 s3, 0x4127693e
	s_delay_alu instid0(VALU_DEP_1) | instskip(NEXT) | instid1(VALU_DEP_1)
	v_div_scale_f64 v[54:55], null, v[10:11], v[10:11], v[52:53]
	v_rcp_f64_e32 v[113:114], v[54:55]
	s_waitcnt_depctr 0xfff
	v_fma_f64 v[115:116], -v[54:55], v[113:114], 1.0
	s_delay_alu instid0(VALU_DEP_1) | instskip(NEXT) | instid1(VALU_DEP_1)
	v_fma_f64 v[113:114], v[113:114], v[115:116], v[113:114]
	v_fma_f64 v[115:116], -v[54:55], v[113:114], 1.0
	s_delay_alu instid0(VALU_DEP_1) | instskip(SKIP_1) | instid1(VALU_DEP_1)
	v_fma_f64 v[113:114], v[113:114], v[115:116], v[113:114]
	v_div_scale_f64 v[115:116], vcc_lo, v[52:53], v[10:11], v[52:53]
	v_mul_f64 v[117:118], v[115:116], v[113:114]
	s_delay_alu instid0(VALU_DEP_1) | instskip(NEXT) | instid1(VALU_DEP_1)
	v_fma_f64 v[54:55], -v[54:55], v[117:118], v[115:116]
	v_div_fmas_f64 v[54:55], v[54:55], v[113:114], v[117:118]
	s_delay_alu instid0(VALU_DEP_1) | instskip(NEXT) | instid1(VALU_DEP_1)
	v_div_fixup_f64 v[52:53], v[54:55], v[10:11], v[52:53]
	v_fma_f64 v[34:35], v[10:11], v[34:35], v[52:53]
	s_delay_alu instid0(VALU_DEP_1) | instskip(SKIP_2) | instid1(VALU_DEP_1)
	v_add_f64 v[34:35], v[34:35], s[2:3]
	s_mov_b32 s2, 0x41317cef
	s_mov_b32 s3, 0x3fce036f
	v_mul_f64 v[34:35], v[34:35], v[26:27]
	s_delay_alu instid0(VALU_DEP_1) | instskip(SKIP_2) | instid1(SALU_CYCLE_1)
	v_fma_f64 v[54:55], v[14:15], s[2:3], v[34:35]
	s_mov_b32 s2, 0xb4d0174d
	s_mov_b32 s3, 0x3fc91e26
	v_div_scale_f64 v[34:35], null, v[10:11], v[10:11], s[2:3]
	s_delay_alu instid0(VALU_DEP_1) | instskip(SKIP_2) | instid1(VALU_DEP_1)
	v_rcp_f64_e32 v[52:53], v[34:35]
	s_waitcnt_depctr 0xfff
	v_fma_f64 v[113:114], -v[34:35], v[52:53], 1.0
	v_fma_f64 v[52:53], v[52:53], v[113:114], v[52:53]
	s_delay_alu instid0(VALU_DEP_1) | instskip(NEXT) | instid1(VALU_DEP_1)
	v_fma_f64 v[113:114], -v[34:35], v[52:53], 1.0
	v_fma_f64 v[52:53], v[52:53], v[113:114], v[52:53]
	v_div_scale_f64 v[113:114], vcc_lo, s[2:3], v[10:11], s[2:3]
	s_delay_alu instid0(VALU_DEP_1) | instskip(NEXT) | instid1(VALU_DEP_1)
	v_mul_f64 v[115:116], v[113:114], v[52:53]
	v_fma_f64 v[34:35], -v[34:35], v[115:116], v[113:114]
	s_delay_alu instid0(VALU_DEP_1) | instskip(NEXT) | instid1(VALU_DEP_1)
	v_div_fmas_f64 v[34:35], v[34:35], v[52:53], v[115:116]
	v_div_fixup_f64 v[34:35], v[34:35], v[10:11], s[2:3]
	s_mov_b32 s2, 0x80245b5f
	s_mov_b32 s3, 0xbfdfce11
	s_delay_alu instid0(VALU_DEP_1) | instid1(SALU_CYCLE_1)
	v_add_f64 v[34:35], v[34:35], s[2:3]
	s_mov_b32 s2, 0x6403a8cf
	s_mov_b32 s3, 0xbf0f8a14
	s_delay_alu instid0(VALU_DEP_1) | instskip(NEXT) | instid1(VALU_DEP_1)
	v_div_scale_f64 v[52:53], null, v[10:11], v[10:11], v[34:35]
	v_rcp_f64_e32 v[113:114], v[52:53]
	s_waitcnt_depctr 0xfff
	v_fma_f64 v[115:116], -v[52:53], v[113:114], 1.0
	s_delay_alu instid0(VALU_DEP_1) | instskip(NEXT) | instid1(VALU_DEP_1)
	v_fma_f64 v[113:114], v[113:114], v[115:116], v[113:114]
	v_fma_f64 v[115:116], -v[52:53], v[113:114], 1.0
	s_delay_alu instid0(VALU_DEP_1) | instskip(SKIP_1) | instid1(VALU_DEP_1)
	v_fma_f64 v[113:114], v[113:114], v[115:116], v[113:114]
	v_div_scale_f64 v[115:116], vcc_lo, v[34:35], v[10:11], v[34:35]
	v_mul_f64 v[117:118], v[115:116], v[113:114]
	s_delay_alu instid0(VALU_DEP_1) | instskip(NEXT) | instid1(VALU_DEP_1)
	v_fma_f64 v[52:53], -v[52:53], v[117:118], v[115:116]
	v_div_fmas_f64 v[52:53], v[52:53], v[113:114], v[117:118]
	s_delay_alu instid0(VALU_DEP_1) | instskip(NEXT) | instid1(VALU_DEP_1)
	v_div_fixup_f64 v[10:11], v[52:53], v[10:11], v[34:35]
	v_add_f64 v[10:11], v[10:11], s[2:3]
	s_delay_alu instid0(VALU_DEP_1) | instskip(NEXT) | instid1(VALU_DEP_1)
	v_fma_f64 v[10:11], v[10:11], v[26:27], v[14:15]
	v_add_f64 v[10:11], v[10:11], -v[54:55]
	s_delay_alu instid0(VALU_DEP_1) | instskip(NEXT) | instid1(VALU_DEP_1)
	v_add_f64 v[10:11], v[10:11], -v[48:49]
	v_add_f64 v[52:53], v[10:11], -v[50:51]
                                        ; implicit-def: $vgpr10_vgpr11
.LBB0_67:
	s_and_not1_saveexec_b32 s48, s0
	s_cbranch_execz .LBB0_73
; %bb.68:
	s_mov_b32 s0, 0x54442d15
	s_mov_b32 s1, 0x3fe921fb
                                        ; implicit-def: $vgpr50_vgpr51
                                        ; implicit-def: $vgpr54_vgpr55
	s_delay_alu instid0(SALU_CYCLE_1) | instskip(SKIP_1) | instid1(VALU_DEP_2)
	v_div_scale_f64 v[0:1], null, v[10:11], v[10:11], s[0:1]
	v_div_scale_f64 v[6:7], vcc_lo, s[0:1], v[10:11], s[0:1]
	v_rcp_f64_e32 v[2:3], v[0:1]
	s_waitcnt_depctr 0xfff
	v_fma_f64 v[4:5], -v[0:1], v[2:3], 1.0
	s_delay_alu instid0(VALU_DEP_1) | instskip(NEXT) | instid1(VALU_DEP_1)
	v_fma_f64 v[2:3], v[2:3], v[4:5], v[2:3]
	v_fma_f64 v[4:5], -v[0:1], v[2:3], 1.0
	s_delay_alu instid0(VALU_DEP_1) | instskip(NEXT) | instid1(VALU_DEP_1)
	v_fma_f64 v[2:3], v[2:3], v[4:5], v[2:3]
	v_mul_f64 v[4:5], v[6:7], v[2:3]
	s_delay_alu instid0(VALU_DEP_1) | instskip(NEXT) | instid1(VALU_DEP_1)
	v_fma_f64 v[0:1], -v[0:1], v[4:5], v[6:7]
	v_div_fmas_f64 v[0:1], v[0:1], v[2:3], v[4:5]
	s_delay_alu instid0(VALU_DEP_1) | instskip(SKIP_1) | instid1(VALU_DEP_1)
	v_div_fixup_f64 v[0:1], v[0:1], v[10:11], s[0:1]
	s_mov_b32 s1, exec_lo
	v_cmp_gt_f64_e32 vcc_lo, 0x10000000, v[0:1]
	v_cndmask_b32_e64 v2, 0, 1, vcc_lo
	s_delay_alu instid0(VALU_DEP_1) | instskip(NEXT) | instid1(VALU_DEP_1)
	v_lshlrev_b32_e32 v2, 8, v2
	v_ldexp_f64 v[0:1], v[0:1], v2
	s_delay_alu instid0(VALU_DEP_1) | instskip(SKIP_3) | instid1(VALU_DEP_1)
	v_rsq_f64_e32 v[2:3], v[0:1]
	s_waitcnt_depctr 0xfff
	v_mul_f64 v[4:5], v[0:1], v[2:3]
	v_mul_f64 v[2:3], v[2:3], 0.5
	v_fma_f64 v[6:7], -v[2:3], v[4:5], 0.5
	s_delay_alu instid0(VALU_DEP_1) | instskip(SKIP_1) | instid1(VALU_DEP_2)
	v_fma_f64 v[4:5], v[4:5], v[6:7], v[4:5]
	v_fma_f64 v[2:3], v[2:3], v[6:7], v[2:3]
	v_fma_f64 v[6:7], -v[4:5], v[4:5], v[0:1]
	s_delay_alu instid0(VALU_DEP_1) | instskip(NEXT) | instid1(VALU_DEP_1)
	v_fma_f64 v[4:5], v[6:7], v[2:3], v[4:5]
	v_fma_f64 v[6:7], -v[4:5], v[4:5], v[0:1]
	s_delay_alu instid0(VALU_DEP_1) | instskip(SKIP_2) | instid1(VALU_DEP_2)
	v_fma_f64 v[2:3], v[6:7], v[2:3], v[4:5]
	v_cndmask_b32_e64 v4, 0, 0xffffff80, vcc_lo
	v_cmp_class_f64_e64 vcc_lo, v[0:1], 0x260
                                        ; implicit-def: $vgpr6_vgpr7
	v_ldexp_f64 v[2:3], v[2:3], v4
	s_delay_alu instid0(VALU_DEP_1)
	v_dual_cndmask_b32 v15, v3, v1 :: v_dual_cndmask_b32 v14, v2, v0
                                        ; implicit-def: $vgpr2_vgpr3
	v_cmpx_ge_f64_e32 0x404a8000, v[10:11]
	s_xor_b32 s49, exec_lo, s1
	s_cbranch_execz .LBB0_70
; %bb.69:
	s_mov_b32 s55, 0xbff71547
	s_mov_b32 s54, 0x652b82fe
	;; [unrolled: 1-line block ×3, first 2 shown]
	v_mul_f64 v[0:1], v[10:11], s[54:55]
	s_mov_b32 s21, 0xbfe62e42
	s_mov_b32 s24, 0x3b39803f
	;; [unrolled: 1-line block ×23, first 2 shown]
	v_cmp_nlt_f64_e32 vcc_lo, 0x4090cc00, v[10:11]
	s_mov_b32 s27, 0x3fe55555
	s_mov_b32 s26, 0x55555555
	v_frexp_exp_i32_f64_e32 v26, v[10:11]
	s_mov_b32 s50, 0x968915a9
	s_mov_b32 s52, 0x4222de17
	;; [unrolled: 1-line block ×5, first 2 shown]
	v_readlane_b32 s10, v187, 2
	v_readlane_b32 s11, v187, 3
	v_rndne_f64_e32 v[0:1], v[0:1]
	s_delay_alu instid0(VALU_DEP_1) | instskip(NEXT) | instid1(VALU_DEP_1)
	v_fma_f64 v[2:3], v[0:1], s[20:21], -v[10:11]
	v_fma_f64 v[2:3], v[0:1], s[24:25], v[2:3]
	v_cvt_i32_f64_e32 v0, v[0:1]
	s_delay_alu instid0(VALU_DEP_2) | instskip(NEXT) | instid1(VALU_DEP_1)
	v_fma_f64 v[4:5], v[2:3], s[22:23], s[16:17]
	v_fma_f64 v[4:5], v[2:3], v[4:5], s[18:19]
	s_delay_alu instid0(VALU_DEP_1) | instskip(NEXT) | instid1(VALU_DEP_1)
	v_fma_f64 v[4:5], v[2:3], v[4:5], s[12:13]
	v_fma_f64 v[4:5], v[2:3], v[4:5], s[36:37]
	s_delay_alu instid0(VALU_DEP_1) | instskip(NEXT) | instid1(VALU_DEP_1)
	;; [unrolled: 3-line block ×4, first 2 shown]
	v_fma_f64 v[4:5], v[2:3], v[4:5], s[4:5]
	v_fma_f64 v[4:5], v[2:3], v[4:5], 1.0
	s_delay_alu instid0(VALU_DEP_1) | instskip(SKIP_1) | instid1(VALU_DEP_2)
	v_fma_f64 v[2:3], v[2:3], v[4:5], 1.0
	v_frexp_mant_f64_e32 v[4:5], v[10:11]
	v_ldexp_f64 v[0:1], v[2:3], v0
	s_delay_alu instid0(VALU_DEP_1) | instskip(NEXT) | instid1(VALU_DEP_2)
	v_dual_mov_b32 v2, 0x3ff00000 :: v_dual_cndmask_b32 v1, 0, v1
	v_cndmask_b32_e32 v0, 0, v0, vcc_lo
	v_cmp_eq_f64_e32 vcc_lo, 1.0, v[10:11]
	s_delay_alu instid0(VALU_DEP_3) | instskip(SKIP_1) | instid1(VALU_DEP_2)
	v_dual_cndmask_b32 v3, 0x40100000, v2 :: v_dual_mov_b32 v2, 0
	v_cmp_gt_f64_e32 vcc_lo, s[26:27], v[4:5]
	v_mov_b32_e32 v6, v2
	v_cndmask_b32_e64 v7, 0x3ff00000, 2.0, vcc_lo
	v_subrev_co_ci_u32_e32 v54, vcc_lo, 0, v26, vcc_lo
	s_delay_alu instid0(VALU_DEP_2) | instskip(NEXT) | instid1(VALU_DEP_1)
	v_mul_f64 v[4:5], v[4:5], v[6:7]
	v_add_f64 v[26:27], v[4:5], 1.0
	v_add_f64 v[6:7], v[4:5], -1.0
	s_delay_alu instid0(VALU_DEP_2) | instskip(NEXT) | instid1(VALU_DEP_1)
	v_add_f64 v[34:35], v[26:27], -1.0
	v_add_f64 v[4:5], v[4:5], -v[34:35]
	v_rcp_f64_e32 v[34:35], v[26:27]
	s_waitcnt_depctr 0xfff
	v_fma_f64 v[48:49], -v[26:27], v[34:35], 1.0
	s_delay_alu instid0(VALU_DEP_1) | instskip(NEXT) | instid1(VALU_DEP_1)
	v_fma_f64 v[34:35], v[48:49], v[34:35], v[34:35]
	v_fma_f64 v[48:49], -v[26:27], v[34:35], 1.0
	s_delay_alu instid0(VALU_DEP_1) | instskip(NEXT) | instid1(VALU_DEP_1)
	v_fma_f64 v[34:35], v[48:49], v[34:35], v[34:35]
	v_mul_f64 v[48:49], v[6:7], v[34:35]
	s_delay_alu instid0(VALU_DEP_1) | instskip(NEXT) | instid1(VALU_DEP_1)
	v_mul_f64 v[50:51], v[26:27], v[48:49]
	v_fma_f64 v[26:27], v[48:49], v[26:27], -v[50:51]
	s_delay_alu instid0(VALU_DEP_1) | instskip(NEXT) | instid1(VALU_DEP_1)
	v_fma_f64 v[4:5], v[48:49], v[4:5], v[26:27]
	v_add_f64 v[26:27], v[50:51], v[4:5]
	s_delay_alu instid0(VALU_DEP_1) | instskip(SKIP_1) | instid1(VALU_DEP_2)
	v_add_f64 v[52:53], v[6:7], -v[26:27]
	v_add_f64 v[50:51], v[26:27], -v[50:51]
	;; [unrolled: 1-line block ×3, first 2 shown]
	s_delay_alu instid0(VALU_DEP_2) | instskip(SKIP_1) | instid1(VALU_DEP_3)
	v_add_f64 v[4:5], v[50:51], -v[4:5]
	v_cvt_f64_i32_e32 v[50:51], v54
	v_add_f64 v[6:7], v[6:7], -v[26:27]
	s_delay_alu instid0(VALU_DEP_1) | instskip(NEXT) | instid1(VALU_DEP_1)
	v_add_f64 v[4:5], v[4:5], v[6:7]
	v_add_f64 v[4:5], v[52:53], v[4:5]
	s_delay_alu instid0(VALU_DEP_1) | instskip(NEXT) | instid1(VALU_DEP_1)
	v_mul_f64 v[4:5], v[34:35], v[4:5]
	v_add_f64 v[6:7], v[48:49], v[4:5]
	s_delay_alu instid0(VALU_DEP_1) | instskip(NEXT) | instid1(VALU_DEP_1)
	v_add_f64 v[26:27], v[6:7], -v[48:49]
	v_add_f64 v[4:5], v[4:5], -v[26:27]
	v_mul_f64 v[26:27], v[6:7], v[6:7]
	s_delay_alu instid0(VALU_DEP_2) | instskip(NEXT) | instid1(VALU_DEP_2)
	v_add_f64 v[48:49], v[4:5], v[4:5]
	v_fma_f64 v[34:35], v[6:7], v[6:7], -v[26:27]
	v_ldexp_f64 v[113:114], v[4:5], 1
	s_delay_alu instid0(VALU_DEP_2) | instskip(NEXT) | instid1(VALU_DEP_1)
	v_fma_f64 v[34:35], v[6:7], v[48:49], v[34:35]
	v_add_f64 v[48:49], v[26:27], v[34:35]
	s_delay_alu instid0(VALU_DEP_1) | instskip(SKIP_1) | instid1(VALU_DEP_2)
	v_add_f64 v[26:27], v[48:49], -v[26:27]
	v_mul_f64 v[115:116], v[6:7], v[48:49]
	v_add_f64 v[26:27], v[34:35], -v[26:27]
	v_fma_f64 v[34:35], v[48:49], s[52:53], s[50:51]
	s_mov_b32 s50, 0x3abe935a
	s_mov_b32 s51, 0x3fbe25e4
	s_delay_alu instid0(VALU_DEP_3) | instskip(NEXT) | instid1(VALU_DEP_2)
	v_fma_f64 v[117:118], v[48:49], v[6:7], -v[115:116]
	v_fma_f64 v[34:35], v[48:49], v[34:35], s[50:51]
	s_mov_b32 s50, 0x47e6c9c2
	s_mov_b32 s51, 0x3fc110ef
	s_delay_alu instid0(VALU_DEP_2) | instskip(NEXT) | instid1(VALU_DEP_2)
	v_fma_f64 v[4:5], v[48:49], v[4:5], v[117:118]
	v_fma_f64 v[34:35], v[48:49], v[34:35], s[50:51]
	s_mov_b32 s50, 0xcfa74449
	s_mov_b32 s51, 0x3fc3b13b
	s_delay_alu instid0(VALU_DEP_2) | instskip(NEXT) | instid1(VALU_DEP_2)
	v_fma_f64 v[4:5], v[26:27], v[6:7], v[4:5]
	v_fma_f64 v[34:35], v[48:49], v[34:35], s[50:51]
	s_mov_b32 s50, 0x71bf3c30
	s_mov_b32 s51, 0x3fc745d1
	s_delay_alu instid0(VALU_DEP_1) | instid1(SALU_CYCLE_1)
	v_fma_f64 v[34:35], v[48:49], v[34:35], s[50:51]
	s_mov_b32 s50, 0x1c7792ce
	s_mov_b32 s51, 0x3fcc71c7
	s_delay_alu instid0(VALU_DEP_1) | instid1(SALU_CYCLE_1)
	;; [unrolled: 4-line block ×4, first 2 shown]
	v_fma_f64 v[34:35], v[48:49], v[34:35], s[50:51]
	s_mov_b32 s51, 0x3fe62e42
	s_mov_b32 s50, s20
	s_delay_alu instid0(SALU_CYCLE_1) | instskip(NEXT) | instid1(VALU_DEP_1)
	v_mul_f64 v[52:53], v[50:51], s[50:51]
	v_fma_f64 v[54:55], v[50:51], s[50:51], -v[52:53]
	s_mov_b32 s51, 0x3c7abc9e
	s_mov_b32 s50, s24
	s_delay_alu instid0(VALU_DEP_1) | instid1(SALU_CYCLE_1)
	v_fma_f64 v[50:51], v[50:51], s[50:51], v[54:55]
	s_delay_alu instid0(VALU_DEP_1) | instskip(NEXT) | instid1(VALU_DEP_1)
	v_add_f64 v[54:55], v[52:53], v[50:51]
	v_add_f64 v[52:53], v[54:55], -v[52:53]
	s_delay_alu instid0(VALU_DEP_1) | instskip(SKIP_2) | instid1(VALU_DEP_1)
	v_add_f64 v[50:51], v[50:51], -v[52:53]
	v_ldexp_f64 v[52:53], v[6:7], 1
	v_add_f64 v[6:7], v[115:116], v[4:5]
	v_add_f64 v[115:116], v[6:7], -v[115:116]
	s_delay_alu instid0(VALU_DEP_1) | instskip(SKIP_1) | instid1(VALU_DEP_1)
	v_add_f64 v[4:5], v[4:5], -v[115:116]
	v_mul_f64 v[115:116], v[48:49], v[34:35]
	v_fma_f64 v[48:49], v[48:49], v[34:35], -v[115:116]
	s_delay_alu instid0(VALU_DEP_1) | instskip(NEXT) | instid1(VALU_DEP_1)
	v_fma_f64 v[26:27], v[26:27], v[34:35], v[48:49]
	v_add_f64 v[34:35], v[115:116], v[26:27]
	s_delay_alu instid0(VALU_DEP_1) | instskip(NEXT) | instid1(VALU_DEP_1)
	v_add_f64 v[48:49], v[34:35], -v[115:116]
	v_add_f64 v[26:27], v[26:27], -v[48:49]
	v_add_f64 v[48:49], v[34:35], s[26:27]
	s_mov_b32 s27, 0xbfe55555
	s_delay_alu instid0(VALU_DEP_1) | instid1(SALU_CYCLE_1)
	v_add_f64 v[115:116], v[48:49], s[26:27]
	s_mov_b32 s26, 0xd5df274d
	s_mov_b32 s27, 0x3c8543b0
	s_delay_alu instid0(VALU_DEP_3) | instid1(SALU_CYCLE_1)
	v_add_f64 v[26:27], v[26:27], s[26:27]
	s_mov_b64 s[26:27], s[44:45]
	s_delay_alu instid0(VALU_DEP_2) | instskip(NEXT) | instid1(VALU_DEP_1)
	v_add_f64 v[34:35], v[34:35], -v[115:116]
	v_add_f64 v[26:27], v[26:27], v[34:35]
	s_delay_alu instid0(VALU_DEP_1) | instskip(NEXT) | instid1(VALU_DEP_1)
	v_add_f64 v[34:35], v[48:49], v[26:27]
	v_add_f64 v[48:49], v[48:49], -v[34:35]
	s_delay_alu instid0(VALU_DEP_1) | instskip(SKIP_1) | instid1(VALU_DEP_1)
	v_add_f64 v[26:27], v[26:27], v[48:49]
	v_mul_f64 v[48:49], v[6:7], v[34:35]
	v_fma_f64 v[115:116], v[6:7], v[34:35], -v[48:49]
	s_delay_alu instid0(VALU_DEP_1) | instskip(NEXT) | instid1(VALU_DEP_1)
	v_fma_f64 v[6:7], v[6:7], v[26:27], v[115:116]
	v_fma_f64 v[4:5], v[4:5], v[34:35], v[6:7]
	s_delay_alu instid0(VALU_DEP_1) | instskip(NEXT) | instid1(VALU_DEP_1)
	v_add_f64 v[6:7], v[48:49], v[4:5]
	v_add_f64 v[26:27], v[6:7], -v[48:49]
	s_delay_alu instid0(VALU_DEP_1) | instskip(SKIP_1) | instid1(VALU_DEP_2)
	v_add_f64 v[4:5], v[4:5], -v[26:27]
	v_add_f64 v[26:27], v[52:53], v[6:7]
	v_add_f64 v[4:5], v[113:114], v[4:5]
	s_delay_alu instid0(VALU_DEP_2) | instskip(NEXT) | instid1(VALU_DEP_1)
	v_add_f64 v[34:35], v[26:27], -v[52:53]
	v_add_f64 v[6:7], v[6:7], -v[34:35]
	s_delay_alu instid0(VALU_DEP_1) | instskip(NEXT) | instid1(VALU_DEP_1)
	v_add_f64 v[4:5], v[4:5], v[6:7]
	v_add_f64 v[6:7], v[26:27], v[4:5]
	s_delay_alu instid0(VALU_DEP_1) | instskip(NEXT) | instid1(VALU_DEP_1)
	v_add_f64 v[26:27], v[6:7], -v[26:27]
	v_add_f64 v[4:5], v[4:5], -v[26:27]
	v_add_f64 v[26:27], v[54:55], v[6:7]
	s_delay_alu instid0(VALU_DEP_1) | instskip(NEXT) | instid1(VALU_DEP_1)
	v_add_f64 v[34:35], v[26:27], -v[54:55]
	v_add_f64 v[48:49], v[26:27], -v[34:35]
	;; [unrolled: 1-line block ×3, first 2 shown]
	v_add_f64 v[34:35], v[50:51], v[4:5]
	s_delay_alu instid0(VALU_DEP_3) | instskip(NEXT) | instid1(VALU_DEP_1)
	v_add_f64 v[48:49], v[54:55], -v[48:49]
	v_add_f64 v[6:7], v[6:7], v[48:49]
	s_delay_alu instid0(VALU_DEP_3) | instskip(NEXT) | instid1(VALU_DEP_2)
	v_add_f64 v[48:49], v[34:35], -v[50:51]
	v_add_f64 v[6:7], v[34:35], v[6:7]
	s_delay_alu instid0(VALU_DEP_2) | instskip(SKIP_1) | instid1(VALU_DEP_3)
	v_add_f64 v[52:53], v[34:35], -v[48:49]
	v_add_f64 v[4:5], v[4:5], -v[48:49]
	v_add_f64 v[34:35], v[26:27], v[6:7]
	s_delay_alu instid0(VALU_DEP_3) | instskip(NEXT) | instid1(VALU_DEP_2)
	v_add_f64 v[50:51], v[50:51], -v[52:53]
	v_add_f64 v[26:27], v[34:35], -v[26:27]
	s_delay_alu instid0(VALU_DEP_2) | instskip(NEXT) | instid1(VALU_DEP_2)
	v_add_f64 v[4:5], v[4:5], v[50:51]
	v_add_f64 v[6:7], v[6:7], -v[26:27]
	s_delay_alu instid0(VALU_DEP_1) | instskip(NEXT) | instid1(VALU_DEP_1)
	v_add_f64 v[4:5], v[4:5], v[6:7]
	v_add_f64 v[6:7], v[34:35], v[4:5]
	s_delay_alu instid0(VALU_DEP_1) | instskip(NEXT) | instid1(VALU_DEP_1)
	v_add_f64 v[26:27], v[6:7], -v[34:35]
	v_add_f64 v[4:5], v[4:5], -v[26:27]
	v_mul_f64 v[26:27], v[2:3], v[6:7]
	s_delay_alu instid0(VALU_DEP_1) | instskip(SKIP_1) | instid1(VALU_DEP_2)
	v_fma_f64 v[6:7], v[2:3], v[6:7], -v[26:27]
	v_cmp_class_f64_e64 vcc_lo, v[26:27], 0x204
	v_fma_f64 v[2:3], v[2:3], v[4:5], v[6:7]
	s_delay_alu instid0(VALU_DEP_1) | instskip(NEXT) | instid1(VALU_DEP_1)
	v_add_f64 v[4:5], v[26:27], v[2:3]
	v_add_f64 v[6:7], v[4:5], -v[26:27]
	v_dual_cndmask_b32 v5, v5, v27 :: v_dual_cndmask_b32 v4, v4, v26
	s_delay_alu instid0(VALU_DEP_1) | instskip(NEXT) | instid1(VALU_DEP_3)
	v_cmp_neq_f64_e64 vcc_lo, 0x7ff00000, |v[4:5]|
	v_add_f64 v[2:3], v[2:3], -v[6:7]
	v_mul_f64 v[6:7], v[4:5], s[54:55]
	s_delay_alu instid0(VALU_DEP_2) | instskip(NEXT) | instid1(VALU_DEP_2)
	v_cndmask_b32_e32 v3, 0, v3, vcc_lo
	v_rndne_f64_e32 v[6:7], v[6:7]
	s_delay_alu instid0(VALU_DEP_4) | instskip(SKIP_1) | instid1(VALU_DEP_3)
	v_cndmask_b32_e32 v2, 0, v2, vcc_lo
	v_cmp_lt_f64_e32 vcc_lo, 0x40900000, v[4:5]
	v_fma_f64 v[26:27], v[6:7], s[20:21], v[4:5]
	s_delay_alu instid0(VALU_DEP_1) | instskip(SKIP_3) | instid1(VALU_DEP_4)
	v_fma_f64 v[26:27], v[6:7], s[24:25], v[26:27]
	v_cvt_i32_f64_e32 v6, v[6:7]
	v_readlane_b32 s24, v187, 0
	v_readlane_b32 s25, v187, 1
	v_fma_f64 v[34:35], v[26:27], s[22:23], s[16:17]
	s_mov_b64 s[22:23], s[40:41]
	s_delay_alu instid0(VALU_DEP_1) | instskip(NEXT) | instid1(VALU_DEP_1)
	v_fma_f64 v[34:35], v[26:27], v[34:35], s[18:19]
	v_fma_f64 v[34:35], v[26:27], v[34:35], s[12:13]
	s_delay_alu instid0(VALU_DEP_1) | instskip(NEXT) | instid1(VALU_DEP_1)
	v_fma_f64 v[34:35], v[26:27], v[34:35], s[36:37]
	v_fma_f64 v[34:35], v[26:27], v[34:35], s[8:9]
	;; [unrolled: 3-line block ×3, first 2 shown]
	s_mov_b32 s2, 0x73219d23
	s_mov_b32 s3, 0xbf61f398
	s_delay_alu instid0(VALU_DEP_1) | instskip(NEXT) | instid1(VALU_DEP_1)
	v_fma_f64 v[34:35], v[26:27], v[34:35], s[0:1]
	v_fma_f64 v[34:35], v[26:27], v[34:35], s[4:5]
	s_delay_alu instid0(VALU_DEP_1) | instskip(NEXT) | instid1(VALU_DEP_1)
	v_fma_f64 v[34:35], v[26:27], v[34:35], 1.0
	v_fma_f64 v[26:27], v[26:27], v[34:35], 1.0
	s_delay_alu instid0(VALU_DEP_1) | instskip(NEXT) | instid1(VALU_DEP_1)
	v_ldexp_f64 v[6:7], v[26:27], v6
	v_cndmask_b32_e64 v27, v7, 0x7ff00000, vcc_lo
	v_and_b32_e32 v7, 0x7fffffff, v7
	v_cmp_ngt_f64_e64 s0, 0xc090cc00, v[4:5]
	s_delay_alu instid0(VALU_DEP_4) | instskip(NEXT) | instid1(VALU_DEP_3)
	v_cndmask_b32_e64 v26, v6, 0, vcc_lo
	v_cmp_eq_f64_e64 s1, 0x7ff00000, v[6:7]
	s_delay_alu instid0(VALU_DEP_3) | instskip(NEXT) | instid1(VALU_DEP_3)
	v_cndmask_b32_e64 v5, 0, v27, s0
	v_cndmask_b32_e64 v4, 0, v26, s0
	s_delay_alu instid0(VALU_DEP_3) | instskip(NEXT) | instid1(VALU_DEP_1)
	s_or_b32 s1, vcc_lo, s1
	v_fma_f64 v[2:3], v[4:5], v[2:3], v[4:5]
	s_and_b32 vcc_lo, s0, s1
	s_mov_b32 s0, 0xf4720604
	s_mov_b32 s1, 0xbfbe7de0
	s_delay_alu instid0(VALU_DEP_1) | instskip(NEXT) | instid1(VALU_DEP_1)
	v_dual_cndmask_b32 v3, v3, v5 :: v_dual_cndmask_b32 v2, v2, v4
	v_mul_f64 v[26:27], v[0:1], |v[2:3]|
	v_fma_f64 v[0:1], v[10:11], s[2:3], s[0:1]
	s_mov_b32 s0, 0xca767e40
	s_mov_b32 s1, 0xbfe801f4
	s_mov_b32 s2, 0xca57d62
	s_mov_b32 s3, 0xbf4fa613
	s_delay_alu instid0(VALU_DEP_1) | instskip(SKIP_2) | instid1(SALU_CYCLE_1)
	v_fma_f64 v[0:1], v[10:11], v[0:1], s[0:1]
	s_mov_b32 s1, 0xc0212d61
	s_mov_b32 s0, 0xa833213e
	v_add_f64 v[2:3], v[10:11], s[0:1]
	s_mov_b32 s1, 0x40212d61
	s_delay_alu instid0(VALU_DEP_1) | instid1(SALU_CYCLE_1)
	v_div_scale_f64 v[4:5], null, v[2:3], v[2:3], s[0:1]
	s_delay_alu instid0(VALU_DEP_1) | instskip(SKIP_2) | instid1(VALU_DEP_1)
	v_rcp_f64_e32 v[6:7], v[4:5]
	s_waitcnt_depctr 0xfff
	v_fma_f64 v[34:35], -v[4:5], v[6:7], 1.0
	v_fma_f64 v[6:7], v[6:7], v[34:35], v[6:7]
	s_delay_alu instid0(VALU_DEP_1) | instskip(NEXT) | instid1(VALU_DEP_1)
	v_fma_f64 v[34:35], -v[4:5], v[6:7], 1.0
	v_fma_f64 v[6:7], v[6:7], v[34:35], v[6:7]
	v_div_scale_f64 v[34:35], vcc_lo, s[0:1], v[2:3], s[0:1]
	s_delay_alu instid0(VALU_DEP_1) | instskip(NEXT) | instid1(VALU_DEP_1)
	v_mul_f64 v[48:49], v[34:35], v[6:7]
	v_fma_f64 v[4:5], -v[4:5], v[48:49], v[34:35]
	s_delay_alu instid0(VALU_DEP_1) | instskip(NEXT) | instid1(VALU_DEP_1)
	v_div_fmas_f64 v[4:5], v[4:5], v[6:7], v[48:49]
	v_div_fixup_f64 v[2:3], v[4:5], v[2:3], s[0:1]
	s_mov_b32 s0, 0x375fd124
	s_mov_b32 s1, 0xbfa707e8
	s_delay_alu instid0(VALU_DEP_1)
	v_fma_f64 v[6:7], v[0:1], v[26:27], v[2:3]
	v_fma_f64 v[0:1], v[10:11], s[2:3], s[0:1]
	s_mov_b32 s0, 0xa731c764
	s_mov_b32 s1, 0x3fe37b28
	s_mov_b32 s2, 0x65435abc
	s_mov_b32 s3, 0xbf37c2e9
	s_delay_alu instid0(VALU_DEP_1) | instskip(SKIP_2) | instid1(SALU_CYCLE_1)
	v_fma_f64 v[0:1], v[10:11], v[0:1], s[0:1]
	s_mov_b32 s1, 0xc00f6a6b
	s_mov_b32 s0, 0xd7175b27
	v_add_f64 v[2:3], v[10:11], s[0:1]
	s_mov_b32 s1, 0x400f6a6b
	s_delay_alu instid0(VALU_DEP_1) | instid1(SALU_CYCLE_1)
	v_div_scale_f64 v[4:5], null, v[2:3], v[2:3], s[0:1]
	s_delay_alu instid0(VALU_DEP_1) | instskip(SKIP_2) | instid1(VALU_DEP_1)
	v_rcp_f64_e32 v[34:35], v[4:5]
	s_waitcnt_depctr 0xfff
	v_fma_f64 v[48:49], -v[4:5], v[34:35], 1.0
	v_fma_f64 v[34:35], v[34:35], v[48:49], v[34:35]
	s_delay_alu instid0(VALU_DEP_1) | instskip(NEXT) | instid1(VALU_DEP_1)
	v_fma_f64 v[48:49], -v[4:5], v[34:35], 1.0
	v_fma_f64 v[34:35], v[34:35], v[48:49], v[34:35]
	v_div_scale_f64 v[48:49], vcc_lo, s[0:1], v[2:3], s[0:1]
	s_delay_alu instid0(VALU_DEP_1) | instskip(NEXT) | instid1(VALU_DEP_1)
	v_mul_f64 v[50:51], v[48:49], v[34:35]
	v_fma_f64 v[4:5], -v[4:5], v[50:51], v[48:49]
	s_delay_alu instid0(VALU_DEP_1) | instskip(NEXT) | instid1(VALU_DEP_1)
	v_div_fmas_f64 v[4:5], v[4:5], v[34:35], v[50:51]
	v_div_fixup_f64 v[2:3], v[4:5], v[2:3], s[0:1]
	s_mov_b32 s0, 0x27365a80
	s_mov_b32 s1, 0xbf829efe
	s_delay_alu instid0(VALU_DEP_1)
	v_fma_f64 v[4:5], v[0:1], v[26:27], v[2:3]
	;; [unrolled: 32-line block ×4, first 2 shown]
	v_fma_f64 v[34:35], v[10:11], s[2:3], s[0:1]
	s_mov_b32 s0, 0xd6d83a5
	s_mov_b32 s1, 0x3f3583ed
	;; [unrolled: 1-line block ×4, first 2 shown]
	s_delay_alu instid0(VALU_DEP_1) | instskip(SKIP_2) | instid1(VALU_DEP_1)
	v_fma_f64 v[34:35], v[10:11], v[34:35], s[0:1]
	s_mov_b32 s0, 0x999f3b2
	s_mov_b32 s1, 0x3f2d856f
	v_mul_f64 v[34:35], v[34:35], v[26:27]
	s_delay_alu instid0(VALU_DEP_1) | instskip(SKIP_2) | instid1(SALU_CYCLE_1)
	v_fma_f64 v[50:51], v[14:15], s[0:1], v[34:35]
	s_mov_b32 s0, 0xc363f0e3
	s_mov_b32 s1, 0xbf6eec89
	v_fma_f64 v[34:35], v[10:11], s[2:3], s[0:1]
	s_mov_b32 s0, 0x813620f6
	s_mov_b32 s1, 0x3f957d47
	;; [unrolled: 1-line block ×4, first 2 shown]
	s_delay_alu instid0(VALU_DEP_1) | instskip(SKIP_2) | instid1(VALU_DEP_1)
	v_fma_f64 v[34:35], v[10:11], v[34:35], s[0:1]
	s_mov_b32 s0, 0x5a77e739
	s_mov_b32 s1, 0x3f93bba1
	v_mul_f64 v[34:35], v[34:35], v[26:27]
	s_delay_alu instid0(VALU_DEP_1) | instskip(SKIP_2) | instid1(SALU_CYCLE_1)
	v_fma_f64 v[48:49], v[14:15], s[0:1], v[34:35]
	s_mov_b32 s0, 0x3f893c63
	s_mov_b32 s1, 0xbf89f358
	v_fma_f64 v[34:35], v[10:11], s[2:3], s[0:1]
	s_mov_b32 s0, 0x72d00ae0
	s_mov_b32 s1, 0x3fb4d9f0
	s_delay_alu instid0(VALU_DEP_1) | instid1(SALU_CYCLE_1)
	v_fma_f64 v[10:11], v[10:11], v[34:35], s[0:1]
	s_mov_b32 s0, 0x41317cef
	s_mov_b32 s1, 0x3fce036f
	s_delay_alu instid0(VALU_DEP_1) | instskip(NEXT) | instid1(VALU_DEP_1)
	v_mul_f64 v[10:11], v[10:11], v[26:27]
	v_fma_f64 v[54:55], v[14:15], s[0:1], v[10:11]
	s_delay_alu instid0(VALU_DEP_1) | instskip(NEXT) | instid1(VALU_DEP_1)
	v_add_f64 v[10:11], v[14:15], -v[54:55]
                                        ; implicit-def: $vgpr14_vgpr15
	v_add_f64 v[10:11], v[10:11], -v[48:49]
	s_delay_alu instid0(VALU_DEP_1)
	v_add_f64 v[52:53], v[10:11], -v[50:51]
                                        ; implicit-def: $vgpr10_vgpr11
.LBB0_70:
	s_and_not1_saveexec_b32 s0, s49
	s_cbranch_execz .LBB0_72
; %bb.71:
	s_mov_b32 s3, 0xbfc2994e
	s_mov_b32 s2, 0x486cd916
	;; [unrolled: 1-line block ×3, first 2 shown]
	v_add_f64 v[0:1], v[10:11], s[2:3]
	s_mov_b32 s3, 0x3fc2994e
	s_mov_b32 s6, 0x41317cef
	;; [unrolled: 1-line block ×3, first 2 shown]
	v_mul_f64 v[54:55], v[14:15], s[6:7]
	s_mov_b32 s7, 0xbfce036f
	s_mov_b32 s4, 0x5a77e739
	s_delay_alu instid0(VALU_DEP_2) | instskip(NEXT) | instid1(VALU_DEP_1)
	v_div_scale_f64 v[2:3], null, v[0:1], v[0:1], s[2:3]
	v_rcp_f64_e32 v[4:5], v[2:3]
	s_waitcnt_depctr 0xfff
	v_fma_f64 v[6:7], -v[2:3], v[4:5], 1.0
	s_delay_alu instid0(VALU_DEP_1) | instskip(NEXT) | instid1(VALU_DEP_1)
	v_fma_f64 v[4:5], v[4:5], v[6:7], v[4:5]
	v_fma_f64 v[6:7], -v[2:3], v[4:5], 1.0
	s_delay_alu instid0(VALU_DEP_1) | instskip(SKIP_1) | instid1(VALU_DEP_1)
	v_fma_f64 v[4:5], v[4:5], v[6:7], v[4:5]
	v_div_scale_f64 v[6:7], vcc_lo, s[2:3], v[0:1], s[2:3]
	v_mul_f64 v[26:27], v[6:7], v[4:5]
	s_delay_alu instid0(VALU_DEP_1) | instskip(NEXT) | instid1(VALU_DEP_1)
	v_fma_f64 v[2:3], -v[2:3], v[26:27], v[6:7]
	v_div_fmas_f64 v[2:3], v[2:3], v[4:5], v[26:27]
	s_delay_alu instid0(VALU_DEP_1) | instskip(SKIP_2) | instid1(SALU_CYCLE_1)
	v_div_fixup_f64 v[0:1], v[2:3], v[0:1], s[2:3]
	s_mov_b32 s3, 0xbff56cf1
	s_mov_b32 s2, 0x472aa3dd
	v_add_f64 v[2:3], v[10:11], s[2:3]
	s_mov_b32 s3, 0x3ff56cf1
	s_delay_alu instid0(VALU_DEP_1) | instid1(SALU_CYCLE_1)
	v_div_scale_f64 v[4:5], null, v[2:3], v[2:3], s[2:3]
	s_delay_alu instid0(VALU_DEP_1) | instskip(SKIP_2) | instid1(VALU_DEP_1)
	v_rcp_f64_e32 v[6:7], v[4:5]
	s_waitcnt_depctr 0xfff
	v_fma_f64 v[26:27], -v[4:5], v[6:7], 1.0
	v_fma_f64 v[6:7], v[6:7], v[26:27], v[6:7]
	s_delay_alu instid0(VALU_DEP_1) | instskip(NEXT) | instid1(VALU_DEP_1)
	v_fma_f64 v[26:27], -v[4:5], v[6:7], 1.0
	v_fma_f64 v[6:7], v[6:7], v[26:27], v[6:7]
	v_div_scale_f64 v[26:27], vcc_lo, s[2:3], v[2:3], s[2:3]
	s_delay_alu instid0(VALU_DEP_1) | instskip(NEXT) | instid1(VALU_DEP_1)
	v_mul_f64 v[34:35], v[26:27], v[6:7]
	v_fma_f64 v[4:5], -v[4:5], v[34:35], v[26:27]
	s_delay_alu instid0(VALU_DEP_1) | instskip(NEXT) | instid1(VALU_DEP_1)
	v_div_fmas_f64 v[4:5], v[4:5], v[6:7], v[34:35]
	v_div_fixup_f64 v[2:3], v[4:5], v[2:3], s[2:3]
	s_mov_b32 s3, 0xc00f6a6b
	s_mov_b32 s2, 0xd7175b27
	s_delay_alu instid0(SALU_CYCLE_1)
	v_add_f64 v[4:5], v[10:11], s[2:3]
	s_mov_b32 s3, 0x400f6a6b
	s_delay_alu instid0(VALU_DEP_1) | instid1(SALU_CYCLE_1)
	v_div_scale_f64 v[6:7], null, v[4:5], v[4:5], s[2:3]
	s_delay_alu instid0(VALU_DEP_1) | instskip(SKIP_2) | instid1(VALU_DEP_1)
	v_rcp_f64_e32 v[26:27], v[6:7]
	s_waitcnt_depctr 0xfff
	v_fma_f64 v[34:35], -v[6:7], v[26:27], 1.0
	v_fma_f64 v[26:27], v[26:27], v[34:35], v[26:27]
	s_delay_alu instid0(VALU_DEP_1) | instskip(NEXT) | instid1(VALU_DEP_1)
	v_fma_f64 v[34:35], -v[6:7], v[26:27], 1.0
	v_fma_f64 v[26:27], v[26:27], v[34:35], v[26:27]
	v_div_scale_f64 v[34:35], vcc_lo, s[2:3], v[4:5], s[2:3]
	s_delay_alu instid0(VALU_DEP_1) | instskip(NEXT) | instid1(VALU_DEP_1)
	v_mul_f64 v[48:49], v[34:35], v[26:27]
	v_fma_f64 v[6:7], -v[6:7], v[48:49], v[34:35]
	s_delay_alu instid0(VALU_DEP_1) | instskip(NEXT) | instid1(VALU_DEP_1)
	v_div_fmas_f64 v[6:7], v[6:7], v[26:27], v[48:49]
	v_div_fixup_f64 v[4:5], v[6:7], v[4:5], s[2:3]
	s_mov_b32 s3, 0xc0212d61
	s_mov_b32 s2, 0xa833213e
	s_delay_alu instid0(SALU_CYCLE_1)
	v_add_f64 v[6:7], v[10:11], s[2:3]
	s_mov_b32 s3, 0x40212d61
	s_delay_alu instid0(VALU_DEP_1) | instid1(SALU_CYCLE_1)
	v_div_scale_f64 v[10:11], null, v[6:7], v[6:7], s[2:3]
	s_delay_alu instid0(VALU_DEP_1) | instskip(SKIP_2) | instid1(VALU_DEP_1)
	v_rcp_f64_e32 v[26:27], v[10:11]
	s_waitcnt_depctr 0xfff
	v_fma_f64 v[34:35], -v[10:11], v[26:27], 1.0
	v_fma_f64 v[26:27], v[26:27], v[34:35], v[26:27]
	s_delay_alu instid0(VALU_DEP_1) | instskip(NEXT) | instid1(VALU_DEP_1)
	v_fma_f64 v[34:35], -v[10:11], v[26:27], 1.0
	v_fma_f64 v[26:27], v[26:27], v[34:35], v[26:27]
	v_div_scale_f64 v[34:35], vcc_lo, s[2:3], v[6:7], s[2:3]
	s_delay_alu instid0(VALU_DEP_1) | instskip(NEXT) | instid1(VALU_DEP_1)
	v_mul_f64 v[48:49], v[34:35], v[26:27]
	v_fma_f64 v[10:11], -v[10:11], v[48:49], v[34:35]
	s_delay_alu instid0(VALU_DEP_1) | instskip(SKIP_2) | instid1(VALU_DEP_2)
	v_div_fmas_f64 v[10:11], v[10:11], v[26:27], v[48:49]
	v_mul_f64 v[48:49], v[14:15], s[4:5]
	s_mov_b32 s5, 0xbf93bba1
	v_div_fixup_f64 v[6:7], v[10:11], v[6:7], s[2:3]
	v_fma_f64 v[10:11], v[14:15], s[6:7], v[14:15]
	s_mov_b32 s3, 0x3f2d856f
	s_mov_b32 s2, 0x999f3b2
	s_delay_alu instid0(SALU_CYCLE_1) | instskip(SKIP_1) | instid1(VALU_DEP_2)
	v_mul_f64 v[50:51], v[14:15], s[2:3]
	s_mov_b32 s3, 0xbf2d856f
	v_fma_f64 v[10:11], v[14:15], s[4:5], v[10:11]
	s_delay_alu instid0(VALU_DEP_1)
	v_fma_f64 v[52:53], v[14:15], s[2:3], v[10:11]
.LBB0_72:
	s_or_b32 exec_lo, exec_lo, s0
.LBB0_73:
	s_delay_alu instid0(SALU_CYCLE_1)
	s_or_b32 exec_lo, exec_lo, s48
.LBB0_74:
	s_delay_alu instid0(SALU_CYCLE_1)
	s_or_b32 exec_lo, exec_lo, s47
.LBB0_75:
	s_delay_alu instid0(SALU_CYCLE_1)
	s_or_b32 exec_lo, exec_lo, s46
.LBB0_76:
	s_delay_alu instid0(SALU_CYCLE_1)
	s_or_b32 exec_lo, exec_lo, s35
.LBB0_77:
	s_delay_alu instid0(SALU_CYCLE_1)
	s_or_b32 exec_lo, exec_lo, s34
.LBB0_78:
	s_delay_alu instid0(SALU_CYCLE_1)
	s_or_b32 exec_lo, exec_lo, s31
.LBB0_79:
	s_delay_alu instid0(SALU_CYCLE_1)
	s_or_b32 exec_lo, exec_lo, s30
	s_clause 0x3
	scratch_store_b128 off, v[0:3], s33 offset:304
	scratch_store_b128 off, v[4:7], s33 offset:320
	scratch_store_b128 off, v[52:55], s33 offset:368
	scratch_store_b128 off, v[48:51], s33 offset:384
.LBB0_80:
	s_or_b32 exec_lo, exec_lo, vcc_hi
.LBB0_81:
	s_delay_alu instid0(SALU_CYCLE_1)
	s_or_b32 exec_lo, exec_lo, s29
                                        ; implicit-def: $vgpr10_vgpr11
.LBB0_82:
	s_and_not1_saveexec_b32 s30, s28
	s_cbranch_execz .LBB0_221
; %bb.83:
	s_mov_b32 s0, 0xf40d8376
	s_mov_b32 s1, 0x3e9421f5
                                        ; implicit-def: $vgpr14_vgpr15
                                        ; implicit-def: $vgpr26_vgpr27
                                        ; implicit-def: $vgpr2_vgpr3
                                        ; implicit-def: $vgpr6_vgpr7
                                        ; implicit-def: $vgpr4_vgpr5
                                        ; implicit-def: $vgpr0_vgpr1
	s_delay_alu instid0(SALU_CYCLE_1) | instskip(SKIP_1) | instid1(SALU_CYCLE_1)
	v_cmp_ngt_f64_e32 vcc_lo, s[0:1], v[10:11]
	s_and_saveexec_b32 s0, vcc_lo
	s_xor_b32 s31, exec_lo, s0
	s_cbranch_execz .LBB0_202
; %bb.84:
                                        ; implicit-def: $vgpr14_vgpr15
                                        ; implicit-def: $vgpr26_vgpr27
                                        ; implicit-def: $vgpr2_vgpr3
                                        ; implicit-def: $vgpr6_vgpr7
                                        ; implicit-def: $vgpr4_vgpr5
                                        ; implicit-def: $vgpr0_vgpr1
	s_mov_b32 s0, exec_lo
	v_cmpx_ngt_f64_e32 1.0, v[10:11]
	s_xor_b32 s12, exec_lo, s0
	s_cbranch_execz .LBB0_188
; %bb.85:
                                        ; implicit-def: $vgpr14_vgpr15
                                        ; implicit-def: $vgpr26_vgpr27
                                        ; implicit-def: $vgpr2_vgpr3
                                        ; implicit-def: $vgpr6_vgpr7
                                        ; implicit-def: $vgpr4_vgpr5
                                        ; implicit-def: $vgpr0_vgpr1
	s_mov_b32 s0, exec_lo
	v_cmpx_ngt_f64_e32 0x40080000, v[10:11]
	s_xor_b32 s13, exec_lo, s0
	s_cbranch_execz .LBB0_174
; %bb.86:
                                        ; implicit-def: $vgpr14_vgpr15
                                        ; implicit-def: $vgpr26_vgpr27
                                        ; implicit-def: $vgpr2_vgpr3
                                        ; implicit-def: $vgpr6_vgpr7
                                        ; implicit-def: $vgpr4_vgpr5
                                        ; implicit-def: $vgpr0_vgpr1
	s_mov_b32 s0, exec_lo
	v_cmpx_ngt_f64_e32 0x40140000, v[10:11]
	s_xor_b32 vcc_hi, exec_lo, s0
	s_cbranch_execz .LBB0_160
; %bb.87:
                                        ; implicit-def: $vgpr14_vgpr15
                                        ; implicit-def: $vgpr26_vgpr27
                                        ; implicit-def: $vgpr2_vgpr3
                                        ; implicit-def: $vgpr6_vgpr7
                                        ; implicit-def: $vgpr4_vgpr5
                                        ; implicit-def: $vgpr0_vgpr1
	s_mov_b32 s0, exec_lo
	v_cmpx_ngt_f64_e32 0x40240000, v[10:11]
	s_xor_b32 s15, exec_lo, s0
	s_cbranch_execz .LBB0_145
; %bb.88:
                                        ; implicit-def: $vgpr14_vgpr15
                                        ; implicit-def: $vgpr26_vgpr27
                                        ; implicit-def: $vgpr2_vgpr3
                                        ; implicit-def: $vgpr6_vgpr7
                                        ; implicit-def: $vgpr4_vgpr5
                                        ; implicit-def: $vgpr0_vgpr1
	s_mov_b32 s0, exec_lo
	v_cmpx_ngt_f64_e32 0x402e0000, v[10:11]
	s_xor_b32 s16, exec_lo, s0
	;; [unrolled: 11-line block ×3, first 2 shown]
	s_cbranch_execz .LBB0_111
; %bb.90:
	s_mov_b32 s0, 0x54442d15
	s_mov_b32 s1, 0x3fe921fb
                                        ; implicit-def: $vgpr14_vgpr15
                                        ; implicit-def: $vgpr26_vgpr27
	s_delay_alu instid0(SALU_CYCLE_1) | instskip(SKIP_1) | instid1(VALU_DEP_2)
	v_div_scale_f64 v[0:1], null, v[10:11], v[10:11], s[0:1]
	v_div_scale_f64 v[6:7], vcc_lo, s[0:1], v[10:11], s[0:1]
	v_rcp_f64_e32 v[2:3], v[0:1]
	s_waitcnt_depctr 0xfff
	v_fma_f64 v[4:5], -v[0:1], v[2:3], 1.0
	s_delay_alu instid0(VALU_DEP_1) | instskip(NEXT) | instid1(VALU_DEP_1)
	v_fma_f64 v[2:3], v[2:3], v[4:5], v[2:3]
	v_fma_f64 v[4:5], -v[0:1], v[2:3], 1.0
	s_delay_alu instid0(VALU_DEP_1) | instskip(NEXT) | instid1(VALU_DEP_1)
	v_fma_f64 v[2:3], v[2:3], v[4:5], v[2:3]
	v_mul_f64 v[4:5], v[6:7], v[2:3]
	s_delay_alu instid0(VALU_DEP_1) | instskip(NEXT) | instid1(VALU_DEP_1)
	v_fma_f64 v[0:1], -v[0:1], v[4:5], v[6:7]
	v_div_fmas_f64 v[0:1], v[0:1], v[2:3], v[4:5]
	s_delay_alu instid0(VALU_DEP_1) | instskip(SKIP_1) | instid1(VALU_DEP_1)
	v_div_fixup_f64 v[0:1], v[0:1], v[10:11], s[0:1]
	s_mov_b32 s0, exec_lo
	v_cmp_gt_f64_e32 vcc_lo, 0x10000000, v[0:1]
	v_cndmask_b32_e64 v2, 0, 1, vcc_lo
	s_delay_alu instid0(VALU_DEP_1) | instskip(NEXT) | instid1(VALU_DEP_1)
	v_lshlrev_b32_e32 v2, 8, v2
	v_ldexp_f64 v[0:1], v[0:1], v2
	s_delay_alu instid0(VALU_DEP_1) | instskip(SKIP_3) | instid1(VALU_DEP_1)
	v_rsq_f64_e32 v[2:3], v[0:1]
	s_waitcnt_depctr 0xfff
	v_mul_f64 v[4:5], v[0:1], v[2:3]
	v_mul_f64 v[2:3], v[2:3], 0.5
	v_fma_f64 v[6:7], -v[2:3], v[4:5], 0.5
	s_delay_alu instid0(VALU_DEP_1) | instskip(SKIP_1) | instid1(VALU_DEP_2)
	v_fma_f64 v[4:5], v[4:5], v[6:7], v[4:5]
	v_fma_f64 v[2:3], v[2:3], v[6:7], v[2:3]
	v_fma_f64 v[6:7], -v[4:5], v[4:5], v[0:1]
	s_delay_alu instid0(VALU_DEP_1) | instskip(NEXT) | instid1(VALU_DEP_1)
	v_fma_f64 v[4:5], v[6:7], v[2:3], v[4:5]
	v_fma_f64 v[6:7], -v[4:5], v[4:5], v[0:1]
	s_delay_alu instid0(VALU_DEP_1) | instskip(SKIP_2) | instid1(VALU_DEP_2)
	v_fma_f64 v[2:3], v[6:7], v[2:3], v[4:5]
	v_cndmask_b32_e64 v4, 0, 0xffffff80, vcc_lo
	v_cmp_class_f64_e64 vcc_lo, v[0:1], 0x260
                                        ; implicit-def: $vgpr6_vgpr7
	v_ldexp_f64 v[2:3], v[2:3], v4
                                        ; implicit-def: $vgpr4_vgpr5
	s_delay_alu instid0(VALU_DEP_1)
	v_dual_cndmask_b32 v3, v3, v1 :: v_dual_cndmask_b32 v2, v2, v0
                                        ; implicit-def: $vgpr0_vgpr1
	v_cmpx_lt_i32_e32 0, v107
	s_xor_b32 s18, exec_lo, s0
	s_cbranch_execz .LBB0_106
; %bb.91:
                                        ; implicit-def: $vgpr14_vgpr15
                                        ; implicit-def: $vgpr26_vgpr27
                                        ; implicit-def: $vgpr6_vgpr7
                                        ; implicit-def: $vgpr4_vgpr5
                                        ; implicit-def: $vgpr0_vgpr1
	s_mov_b32 s0, exec_lo
	v_cmpx_lt_i32_e32 1, v107
	s_xor_b32 s19, exec_lo, s0
	s_cbranch_execz .LBB0_99
; %bb.92:
	v_mov_b32_e32 v14, 0
	v_mov_b32_e32 v15, 0
	s_delay_alu instid0(VALU_DEP_2)
	v_mov_b32_e32 v6, v14
	v_mov_b32_e32 v4, v14
	v_mov_b32_e32 v0, v14
	s_mov_b32 s20, exec_lo
	v_mov_b32_e32 v1, v15
	v_dual_mov_b32 v27, v15 :: v_dual_mov_b32 v26, v14
	v_mov_b32_e32 v7, v15
	v_mov_b32_e32 v5, v15
	v_cmpx_eq_u32_e32 2, v107
	s_cbranch_execz .LBB0_98
; %bb.93:
                                        ; implicit-def: $vgpr14_vgpr15
                                        ; implicit-def: $vgpr26_vgpr27
                                        ; implicit-def: $vgpr6_vgpr7
                                        ; implicit-def: $vgpr4_vgpr5
                                        ; implicit-def: $vgpr0_vgpr1
	s_mov_b32 s0, exec_lo
	v_cmpx_ngt_f64_e32 0x40478000, v[10:11]
	s_xor_b32 s4, exec_lo, s0
	s_cbranch_execz .LBB0_95
; %bb.94:
	s_mov_b32 s3, 0xbfc85747
	s_mov_b32 s2, 0x227076b0
	;; [unrolled: 1-line block ×3, first 2 shown]
	v_add_f64 v[0:1], v[10:11], s[2:3]
	s_mov_b32 s6, 0x44af141d
	s_mov_b32 s9, 0xc01619f3
	v_add_f64 v[4:5], v[10:11], s[6:7]
	s_mov_b32 s8, 0xb5c0b740
	s_mov_b32 s3, 0x3fc85747
	;; [unrolled: 3-line block ×3, first 2 shown]
	s_mov_b32 s23, 0x3fc6af85
	s_mov_b32 s22, 0x8329214a
	s_delay_alu instid0(VALU_DEP_3) | instskip(SKIP_1) | instid1(VALU_DEP_4)
	v_div_scale_f64 v[10:11], null, v[0:1], v[0:1], s[2:3]
	v_div_scale_f64 v[115:116], vcc_lo, s[2:3], v[0:1], s[2:3]
	v_div_scale_f64 v[14:15], null, v[4:5], v[4:5], s[6:7]
	s_delay_alu instid0(VALU_DEP_4) | instskip(NEXT) | instid1(VALU_DEP_4)
	v_div_scale_f64 v[26:27], null, v[6:7], v[6:7], s[8:9]
	v_rcp_f64_e32 v[34:35], v[10:11]
	s_delay_alu instid0(VALU_DEP_2) | instskip(NEXT) | instid1(VALU_DEP_1)
	v_rcp_f64_e32 v[48:49], v[14:15]
	v_rcp_f64_e32 v[50:51], v[26:27]
	s_delay_alu instid0(TRANS32_DEP_3) | instskip(SKIP_4) | instid1(VALU_DEP_3)
	v_fma_f64 v[52:53], -v[10:11], v[34:35], 1.0
	s_waitcnt_depctr 0xfff
	v_fma_f64 v[54:55], -v[14:15], v[48:49], 1.0
	v_fma_f64 v[113:114], -v[26:27], v[50:51], 1.0
	v_fma_f64 v[34:35], v[34:35], v[52:53], v[34:35]
	v_fma_f64 v[48:49], v[48:49], v[54:55], v[48:49]
	s_delay_alu instid0(VALU_DEP_3) | instskip(NEXT) | instid1(VALU_DEP_3)
	v_fma_f64 v[50:51], v[50:51], v[113:114], v[50:51]
	v_fma_f64 v[52:53], -v[10:11], v[34:35], 1.0
	s_delay_alu instid0(VALU_DEP_3) | instskip(NEXT) | instid1(VALU_DEP_3)
	v_fma_f64 v[54:55], -v[14:15], v[48:49], 1.0
	v_fma_f64 v[113:114], -v[26:27], v[50:51], 1.0
	s_delay_alu instid0(VALU_DEP_3) | instskip(SKIP_1) | instid1(VALU_DEP_4)
	v_fma_f64 v[34:35], v[34:35], v[52:53], v[34:35]
	v_div_scale_f64 v[52:53], s0, s[6:7], v[4:5], s[6:7]
	v_fma_f64 v[48:49], v[48:49], v[54:55], v[48:49]
	v_div_scale_f64 v[54:55], s1, s[8:9], v[6:7], s[8:9]
	v_fma_f64 v[50:51], v[50:51], v[113:114], v[50:51]
	v_mul_f64 v[113:114], v[115:116], v[34:35]
	s_delay_alu instid0(VALU_DEP_4) | instskip(NEXT) | instid1(VALU_DEP_3)
	v_mul_f64 v[117:118], v[52:53], v[48:49]
	v_mul_f64 v[128:129], v[54:55], v[50:51]
	s_delay_alu instid0(VALU_DEP_3) | instskip(NEXT) | instid1(VALU_DEP_3)
	v_fma_f64 v[10:11], -v[10:11], v[113:114], v[115:116]
	v_fma_f64 v[14:15], -v[14:15], v[117:118], v[52:53]
	s_delay_alu instid0(VALU_DEP_3) | instskip(SKIP_2) | instid1(VALU_DEP_4)
	v_fma_f64 v[52:53], -v[26:27], v[128:129], v[54:55]
	v_mul_f64 v[26:27], v[2:3], s[22:23]
	s_mov_b32 s23, 0xbfc6af85
	v_div_fmas_f64 v[10:11], v[10:11], v[34:35], v[113:114]
	s_mov_b32 vcc_lo, s0
	s_mov_b32 s0, 0x4d84c79e
	s_delay_alu instid0(VALU_DEP_4) | instskip(SKIP_2) | instid1(VALU_DEP_4)
	v_div_fmas_f64 v[34:35], v[14:15], v[48:49], v[117:118]
	s_mov_b32 vcc_lo, s1
	s_mov_b32 s1, 0x3f74efde
	v_div_fmas_f64 v[48:49], v[52:53], v[50:51], v[128:129]
	v_fma_f64 v[50:51], v[2:3], s[22:23], v[2:3]
	v_mul_f64 v[14:15], v[2:3], s[0:1]
	s_mov_b32 s1, 0xbf74efde
	s_mov_b64 s[22:23], s[40:41]
	v_div_fixup_f64 v[0:1], v[10:11], v[0:1], s[2:3]
                                        ; implicit-def: $vgpr10_vgpr11
	v_div_fixup_f64 v[4:5], v[34:35], v[4:5], s[6:7]
	v_div_fixup_f64 v[6:7], v[48:49], v[6:7], s[8:9]
	v_fma_f64 v[2:3], v[2:3], s[0:1], v[50:51]
.LBB0_95:
	s_and_not1_saveexec_b32 s3, s4
	s_cbranch_execz .LBB0_97
; %bb.96:
	s_mov_b32 s0, 0x652b82fe
	s_mov_b32 s1, 0xbff71547
	;; [unrolled: 1-line block ×3, first 2 shown]
	v_mul_f64 v[0:1], v[10:11], s[0:1]
	s_mov_b32 s0, 0xfefa39ef
	s_mov_b32 s1, 0xbfe62e42
	;; [unrolled: 1-line block ×6, first 2 shown]
	v_add_f64 v[34:35], v[10:11], s[6:7]
	s_mov_b32 s8, 0xb5c0b740
	s_mov_b32 s7, 0x3ffc8d48
	v_add_f64 v[48:49], v[10:11], s[8:9]
	s_mov_b32 s9, 0x401619f3
	s_mov_b32 s22, 0x2a665401
	;; [unrolled: 1-line block ×9, first 2 shown]
	v_cmp_nlt_f64_e64 s2, 0x4090cc00, v[10:11]
	v_readlane_b32 s10, v187, 2
	v_readlane_b32 s11, v187, 3
	v_rndne_f64_e32 v[0:1], v[0:1]
	v_div_scale_f64 v[50:51], null, v[34:35], v[34:35], s[6:7]
	v_div_scale_f64 v[52:53], null, v[48:49], v[48:49], s[8:9]
	s_delay_alu instid0(VALU_DEP_3) | instskip(SKIP_3) | instid1(VALU_DEP_4)
	v_fma_f64 v[4:5], v[0:1], s[0:1], -v[10:11]
	s_mov_b32 s0, 0x3b39803f
	s_mov_b32 s1, 0xbc7abc9e
	v_cvt_i32_f64_e32 v119, v[0:1]
	v_rcp_f64_e32 v[113:114], v[50:51]
	s_delay_alu instid0(VALU_DEP_3) | instskip(NEXT) | instid1(VALU_DEP_2)
	v_rcp_f64_e32 v[115:116], v[52:53]
	v_fma_f64 v[4:5], v[0:1], s[0:1], v[4:5]
	s_mov_b32 s0, 0xfca7ab0c
	s_mov_b32 s1, 0x3e928af3
	s_waitcnt_depctr 0xfff
	v_fma_f64 v[128:129], -v[50:51], v[113:114], 1.0
	v_fma_f64 v[130:131], -v[52:53], v[115:116], 1.0
	v_fma_f64 v[6:7], v[4:5], s[4:5], s[0:1]
	s_mov_b32 s0, 0x623fde64
	s_mov_b32 s1, 0x3ec71dee
	;; [unrolled: 1-line block ×4, first 2 shown]
	s_delay_alu instid0(SALU_CYCLE_1) | instskip(SKIP_1) | instid1(VALU_DEP_4)
	v_add_f64 v[14:15], v[10:11], s[4:5]
	s_mov_b32 s5, 0x3fc85747
	v_fma_f64 v[113:114], v[113:114], v[128:129], v[113:114]
	s_delay_alu instid0(VALU_DEP_4) | instskip(NEXT) | instid1(VALU_DEP_4)
	v_fma_f64 v[115:116], v[115:116], v[130:131], v[115:116]
	v_fma_f64 v[6:7], v[4:5], v[6:7], s[0:1]
	s_mov_b32 s0, 0x7c89e6b0
	s_mov_b32 s1, 0x3efa0199
	s_delay_alu instid0(VALU_DEP_4)
	v_div_scale_f64 v[26:27], null, v[14:15], v[14:15], s[4:5]
	v_div_scale_f64 v[132:133], vcc_lo, s[4:5], v[14:15], s[4:5]
	v_fma_f64 v[128:129], -v[50:51], v[113:114], 1.0
	v_fma_f64 v[130:131], -v[52:53], v[115:116], 1.0
	v_fma_f64 v[6:7], v[4:5], v[6:7], s[0:1]
	s_mov_b32 s0, 0x14761f6e
	s_mov_b32 s1, 0x3f2a01a0
	v_rcp_f64_e32 v[54:55], v[26:27]
	s_delay_alu instid0(VALU_DEP_3) | instskip(NEXT) | instid1(VALU_DEP_3)
	v_fma_f64 v[0:1], v[113:114], v[128:129], v[113:114]
	v_fma_f64 v[113:114], v[115:116], v[130:131], v[115:116]
	;; [unrolled: 1-line block ×3, first 2 shown]
	s_mov_b64 s[26:27], s[44:45]
	s_delay_alu instid0(VALU_DEP_4)
	v_fma_f64 v[6:7], v[4:5], v[6:7], s[0:1]
	s_mov_b32 s0, 0x1852b7b0
	s_mov_b32 s1, 0x3f56c16c
	s_waitcnt_depctr 0xfff
	v_fma_f64 v[117:118], -v[26:27], v[54:55], 1.0
	v_fma_f64 v[6:7], v[4:5], v[6:7], s[0:1]
	s_mov_b32 s0, 0x11122322
	s_mov_b32 s1, 0x3f811111
	s_delay_alu instid0(VALU_DEP_2) | instskip(NEXT) | instid1(VALU_DEP_2)
	v_fma_f64 v[54:55], v[54:55], v[117:118], v[54:55]
	v_fma_f64 v[6:7], v[4:5], v[6:7], s[0:1]
	s_mov_b32 s0, 0x555502a1
	s_mov_b32 s1, 0x3fa55555
	s_delay_alu instid0(VALU_DEP_2) | instskip(NEXT) | instid1(VALU_DEP_2)
	v_fma_f64 v[117:118], -v[26:27], v[54:55], 1.0
	v_fma_f64 v[6:7], v[4:5], v[6:7], s[0:1]
	s_mov_b32 s0, 0x55555511
	s_mov_b32 s1, 0x3fc55555
	s_delay_alu instid0(VALU_DEP_2) | instskip(NEXT) | instid1(VALU_DEP_2)
	v_fma_f64 v[54:55], v[54:55], v[117:118], v[54:55]
	v_fma_f64 v[6:7], v[4:5], v[6:7], s[0:1]
	s_mov_b32 s0, 11
	s_mov_b32 s1, 0x3fe00000
	s_delay_alu instid0(VALU_DEP_2) | instskip(NEXT) | instid1(VALU_DEP_2)
	v_mul_f64 v[128:129], v[132:133], v[54:55]
	v_fma_f64 v[6:7], v[4:5], v[6:7], s[0:1]
	v_div_scale_f64 v[117:118], s0, s[6:7], v[34:35], s[6:7]
	v_div_scale_f64 v[134:135], s1, s[8:9], v[48:49], s[8:9]
	s_delay_alu instid0(VALU_DEP_4) | instskip(NEXT) | instid1(VALU_DEP_4)
	v_fma_f64 v[26:27], -v[26:27], v[128:129], v[132:133]
	v_fma_f64 v[6:7], v[4:5], v[6:7], 1.0
	s_delay_alu instid0(VALU_DEP_4) | instskip(NEXT) | instid1(VALU_DEP_4)
	v_mul_f64 v[130:131], v[117:118], v[0:1]
	v_mul_f64 v[144:145], v[134:135], v[113:114]
	s_delay_alu instid0(VALU_DEP_4) | instskip(SKIP_1) | instid1(VALU_DEP_4)
	v_div_fmas_f64 v[54:55], v[26:27], v[54:55], v[128:129]
	s_mov_b32 vcc_lo, s0
	v_fma_f64 v[4:5], v[4:5], v[6:7], 1.0
	v_fma_f64 v[6:7], v[10:11], s[24:25], s[22:23]
	s_mov_b32 s22, 0x993054c7
	s_mov_b32 s24, 0xc516d25b
	s_mov_b32 s23, 0x40681f46
	s_mov_b32 s25, 0x40e297ed
	v_fma_f64 v[50:51], -v[50:51], v[130:131], v[117:118]
	v_fma_f64 v[115:116], v[10:11], v[115:116], s[24:25]
	s_mov_b32 s24, 0x6e2adcdd
	s_mov_b32 s25, 0xc01d8ff5
	v_div_fixup_f64 v[54:55], v[54:55], v[14:15], s[4:5]
	v_ldexp_f64 v[4:5], v[4:5], v119
	v_fma_f64 v[6:7], v[10:11], v[6:7], s[22:23]
	s_mov_b32 s22, 0x5cbf58d1
	s_mov_b32 s23, 0xc09a3784
	v_div_fmas_f64 v[0:1], v[50:51], v[0:1], v[130:131]
	s_mov_b32 vcc_lo, s1
	s_mov_b32 s0, 0x8329214a
	s_mov_b32 s1, 0x3fc6af85
	s_delay_alu instid0(VALU_DEP_3) | instskip(NEXT) | instid1(VALU_DEP_4)
	v_cndmask_b32_e64 v118, 0, v5, s2
	v_cndmask_b32_e64 v117, 0, v4, s2
	v_fma_f64 v[4:5], -v[52:53], v[144:145], v[134:135]
	v_fma_f64 v[6:7], v[10:11], v[6:7], s[22:23]
	s_mov_b32 s22, 0xf8d19143
	s_mov_b32 s23, 0x40741517
	v_mul_f64 v[52:53], v[115:116], v[117:118]
	v_fma_f64 v[115:116], v[10:11], s[24:25], s[22:23]
	s_mov_b32 s22, 0x3a45ec1c
	s_mov_b32 s24, 0x13f8e283
	;; [unrolled: 1-line block ×4, first 2 shown]
	v_div_fixup_f64 v[34:35], v[0:1], v[34:35], s[6:7]
	v_fma_f64 v[128:129], v[10:11], s[24:25], s[22:23]
	s_mov_b32 s22, 0xc25f0059
	s_mov_b32 s24, 0x50eddf20
	;; [unrolled: 1-line block ×4, first 2 shown]
	s_delay_alu instid0(SALU_CYCLE_1)
	v_fma_f64 v[50:51], v[10:11], s[24:25], s[22:23]
	v_readlane_b32 s24, v187, 0
	v_readlane_b32 s25, v187, 1
	s_mov_b64 s[22:23], s[40:41]
	v_div_fmas_f64 v[4:5], v[4:5], v[113:114], v[144:145]
	v_mul_f64 v[6:7], v[6:7], v[117:118]
	v_fma_f64 v[26:27], v[2:3], s[0:1], v[52:53]
	s_mov_b32 s0, 0x86a45708
	s_mov_b32 s1, 0xc0af34ac
	s_delay_alu instid0(SALU_CYCLE_1) | instskip(SKIP_2) | instid1(SALU_CYCLE_1)
	v_fma_f64 v[52:53], v[10:11], v[115:116], s[0:1]
	s_mov_b32 s0, 0x2ce6c464
	s_mov_b32 s1, 0xc0e2e3c9
	v_fma_f64 v[113:114], v[10:11], v[128:129], s[0:1]
	s_mov_b32 s0, 0x3f243651
	s_mov_b32 s1, 0xc0ff45e9
	s_delay_alu instid0(SALU_CYCLE_1)
	v_fma_f64 v[10:11], v[10:11], v[50:51], s[0:1]
	s_mov_b32 s0, 0x4d84c79e
	s_mov_b32 s1, 0x3f74efde
	v_div_fixup_f64 v[48:49], v[4:5], v[48:49], s[8:9]
	v_fma_f64 v[14:15], v[2:3], s[0:1], v[6:7]
	v_add_f64 v[2:3], v[2:3], -v[26:27]
	v_fma_f64 v[0:1], v[52:53], v[117:118], v[54:55]
	v_fma_f64 v[4:5], v[113:114], v[117:118], v[34:35]
	;; [unrolled: 1-line block ×3, first 2 shown]
	s_delay_alu instid0(VALU_DEP_4)
	v_add_f64 v[2:3], v[2:3], -v[14:15]
.LBB0_97:
	s_or_b32 exec_lo, exec_lo, s3
.LBB0_98:
	s_delay_alu instid0(SALU_CYCLE_1)
	s_or_b32 exec_lo, exec_lo, s20
                                        ; implicit-def: $vgpr10_vgpr11
.LBB0_99:
	s_and_not1_saveexec_b32 s2, s19
	s_cbranch_execz .LBB0_105
; %bb.100:
	s_mov_b32 s3, exec_lo
                                        ; implicit-def: $vgpr26_vgpr27
                                        ; implicit-def: $sgpr0_sgpr1
                                        ; implicit-def: $vgpr4_vgpr5
                                        ; implicit-def: $vgpr0_vgpr1
	v_cmpx_ngt_f64_e32 0x40440000, v[10:11]
	s_xor_b32 s3, exec_lo, s3
	s_cbranch_execz .LBB0_102
; %bb.101:
	s_mov_b32 s5, 0xbfd19dc7
	s_mov_b32 s4, 0xafdb7b47
	;; [unrolled: 1-line block ×3, first 2 shown]
	v_add_f64 v[0:1], v[10:11], s[4:5]
	s_mov_b32 s6, 0xa049083
	s_mov_b32 s5, 0x3fd19dc7
	v_add_f64 v[4:5], v[10:11], s[6:7]
	s_mov_b32 s7, 0x4005cc47
	s_mov_b32 s1, 0x3fb77d0a
	s_delay_alu instid0(VALU_DEP_2) | instskip(SKIP_1) | instid1(VALU_DEP_3)
	v_div_scale_f64 v[6:7], null, v[0:1], v[0:1], s[4:5]
	v_div_scale_f64 v[50:51], vcc_lo, s[4:5], v[0:1], s[4:5]
	v_div_scale_f64 v[10:11], null, v[4:5], v[4:5], s[6:7]
	s_delay_alu instid0(VALU_DEP_3) | instskip(NEXT) | instid1(VALU_DEP_1)
	v_rcp_f64_e32 v[14:15], v[6:7]
	v_rcp_f64_e32 v[26:27], v[10:11]
	s_waitcnt_depctr 0xfff
	v_fma_f64 v[34:35], -v[6:7], v[14:15], 1.0
	v_fma_f64 v[48:49], -v[10:11], v[26:27], 1.0
	s_delay_alu instid0(VALU_DEP_2) | instskip(NEXT) | instid1(VALU_DEP_2)
	v_fma_f64 v[14:15], v[14:15], v[34:35], v[14:15]
	v_fma_f64 v[26:27], v[26:27], v[48:49], v[26:27]
	s_delay_alu instid0(VALU_DEP_2) | instskip(NEXT) | instid1(VALU_DEP_2)
	v_fma_f64 v[34:35], -v[6:7], v[14:15], 1.0
	v_fma_f64 v[48:49], -v[10:11], v[26:27], 1.0
	s_delay_alu instid0(VALU_DEP_2) | instskip(SKIP_1) | instid1(VALU_DEP_3)
	v_fma_f64 v[14:15], v[14:15], v[34:35], v[14:15]
	v_div_scale_f64 v[34:35], s0, s[6:7], v[4:5], s[6:7]
	v_fma_f64 v[26:27], v[26:27], v[48:49], v[26:27]
	s_delay_alu instid0(VALU_DEP_3) | instskip(NEXT) | instid1(VALU_DEP_2)
	v_mul_f64 v[48:49], v[50:51], v[14:15]
	v_mul_f64 v[52:53], v[34:35], v[26:27]
	s_delay_alu instid0(VALU_DEP_2) | instskip(NEXT) | instid1(VALU_DEP_2)
	v_fma_f64 v[6:7], -v[6:7], v[48:49], v[50:51]
	v_fma_f64 v[10:11], -v[10:11], v[52:53], v[34:35]
	s_delay_alu instid0(VALU_DEP_2) | instskip(SKIP_2) | instid1(VALU_DEP_2)
	v_div_fmas_f64 v[6:7], v[6:7], v[14:15], v[48:49]
	s_mov_b32 vcc_lo, s0
	s_mov_b32 s0, 0x3fcf4f02
	v_div_fmas_f64 v[10:11], v[10:11], v[26:27], v[52:53]
	v_mul_f64 v[26:27], v[2:3], s[0:1]
	s_mov_b32 s1, 0xbfb77d0a
	s_delay_alu instid0(SALU_CYCLE_1) | instskip(SKIP_1) | instid1(VALU_DEP_4)
	v_fma_f64 v[2:3], v[2:3], s[0:1], v[2:3]
	s_mov_b64 s[0:1], 0
	v_div_fixup_f64 v[0:1], v[6:7], v[0:1], s[4:5]
	s_delay_alu instid0(VALU_DEP_4)
	v_div_fixup_f64 v[4:5], v[10:11], v[4:5], s[6:7]
                                        ; implicit-def: $vgpr10_vgpr11
.LBB0_102:
	s_or_saveexec_b32 s3, s3
	v_dual_mov_b32 v15, s1 :: v_dual_mov_b32 v14, s0
	s_xor_b32 exec_lo, exec_lo, s3
	s_cbranch_execz .LBB0_104
; %bb.103:
	s_mov_b32 s0, 0x652b82fe
	s_mov_b32 s1, 0xbff71547
	;; [unrolled: 1-line block ×3, first 2 shown]
	v_mul_f64 v[0:1], v[10:11], s[0:1]
	s_mov_b32 s0, 0xfefa39ef
	s_mov_b32 s1, 0xbfe62e42
	;; [unrolled: 1-line block ×6, first 2 shown]
	v_add_f64 v[26:27], v[10:11], s[6:7]
	s_mov_b32 s7, 0x4005cc47
	s_mov_b32 s20, 0xd5aa3881
	;; [unrolled: 1-line block ×4, first 2 shown]
	s_delay_alu instid0(VALU_DEP_2) | instskip(NEXT) | instid1(VALU_DEP_2)
	v_rndne_f64_e32 v[0:1], v[0:1]
	v_div_scale_f64 v[48:49], null, v[26:27], v[26:27], s[6:7]
	s_delay_alu instid0(VALU_DEP_2) | instskip(SKIP_2) | instid1(VALU_DEP_2)
	v_fma_f64 v[4:5], v[0:1], s[0:1], -v[10:11]
	s_mov_b32 s0, 0x3b39803f
	s_mov_b32 s1, 0xbc7abc9e
	v_rcp_f64_e32 v[52:53], v[48:49]
	s_delay_alu instid0(VALU_DEP_1)
	v_fma_f64 v[4:5], v[0:1], s[0:1], v[4:5]
	s_mov_b32 s0, 0xfca7ab0c
	s_mov_b32 s1, 0x3e928af3
	s_waitcnt_depctr 0xfff
	v_fma_f64 v[113:114], -v[48:49], v[52:53], 1.0
	v_fma_f64 v[6:7], v[4:5], s[4:5], s[0:1]
	s_mov_b32 s0, 0x623fde64
	s_mov_b32 s1, 0x3ec71dee
	;; [unrolled: 1-line block ×4, first 2 shown]
	s_delay_alu instid0(SALU_CYCLE_1) | instskip(SKIP_1) | instid1(VALU_DEP_3)
	v_add_f64 v[14:15], v[10:11], s[4:5]
	s_mov_b32 s5, 0x3fd19dc7
	v_fma_f64 v[52:53], v[52:53], v[113:114], v[52:53]
	s_delay_alu instid0(VALU_DEP_3) | instskip(SKIP_2) | instid1(VALU_DEP_3)
	v_fma_f64 v[6:7], v[4:5], v[6:7], s[0:1]
	s_mov_b32 s0, 0x7c89e6b0
	s_mov_b32 s1, 0x3efa0199
	v_div_scale_f64 v[34:35], null, v[14:15], v[14:15], s[4:5]
	v_div_scale_f64 v[115:116], vcc_lo, s[4:5], v[14:15], s[4:5]
	s_delay_alu instid0(VALU_DEP_4) | instskip(NEXT) | instid1(VALU_DEP_4)
	v_fma_f64 v[113:114], -v[48:49], v[52:53], 1.0
	v_fma_f64 v[6:7], v[4:5], v[6:7], s[0:1]
	s_mov_b32 s0, 0x14761f6e
	s_mov_b32 s1, 0x3f2a01a0
	s_delay_alu instid0(VALU_DEP_4) | instskip(NEXT) | instid1(VALU_DEP_2)
	v_rcp_f64_e32 v[50:51], v[34:35]
	v_fma_f64 v[52:53], v[52:53], v[113:114], v[52:53]
	v_cvt_i32_f64_e32 v113, v[0:1]
	s_delay_alu instid0(VALU_DEP_3)
	v_fma_f64 v[6:7], v[4:5], v[6:7], s[0:1]
	s_mov_b32 s0, 0x1852b7b0
	s_mov_b32 s1, 0x3f56c16c
	s_waitcnt_depctr 0xfff
	v_fma_f64 v[54:55], -v[34:35], v[50:51], 1.0
	v_fma_f64 v[6:7], v[4:5], v[6:7], s[0:1]
	s_mov_b32 s0, 0x11122322
	s_mov_b32 s1, 0x3f811111
	s_delay_alu instid0(VALU_DEP_2) | instskip(NEXT) | instid1(VALU_DEP_2)
	v_fma_f64 v[50:51], v[50:51], v[54:55], v[50:51]
	v_fma_f64 v[6:7], v[4:5], v[6:7], s[0:1]
	s_mov_b32 s0, 0x555502a1
	s_mov_b32 s1, 0x3fa55555
	s_delay_alu instid0(VALU_DEP_2) | instskip(NEXT) | instid1(VALU_DEP_2)
	v_fma_f64 v[54:55], -v[34:35], v[50:51], 1.0
	v_fma_f64 v[6:7], v[4:5], v[6:7], s[0:1]
	s_mov_b32 s0, 0x55555511
	s_mov_b32 s1, 0x3fc55555
	s_delay_alu instid0(VALU_DEP_2) | instskip(NEXT) | instid1(VALU_DEP_2)
	v_fma_f64 v[50:51], v[50:51], v[54:55], v[50:51]
	v_fma_f64 v[6:7], v[4:5], v[6:7], s[0:1]
	s_mov_b32 s0, 11
	s_mov_b32 s1, 0x3fe00000
	s_delay_alu instid0(VALU_DEP_1) | instid1(SALU_CYCLE_1)
	v_fma_f64 v[6:7], v[4:5], v[6:7], s[0:1]
	v_div_scale_f64 v[54:55], s0, s[6:7], v[26:27], s[6:7]
	v_cmp_nlt_f64_e64 s1, 0x4090cc00, v[10:11]
	s_delay_alu instid0(VALU_DEP_3) | instskip(NEXT) | instid1(VALU_DEP_1)
	v_fma_f64 v[6:7], v[4:5], v[6:7], 1.0
	v_fma_f64 v[0:1], v[4:5], v[6:7], 1.0
	v_mul_f64 v[4:5], v[115:116], v[50:51]
	v_mul_f64 v[6:7], v[54:55], v[52:53]
	s_delay_alu instid0(VALU_DEP_3) | instskip(NEXT) | instid1(VALU_DEP_3)
	v_ldexp_f64 v[0:1], v[0:1], v113
	v_fma_f64 v[34:35], -v[34:35], v[4:5], v[115:116]
	s_delay_alu instid0(VALU_DEP_3) | instskip(SKIP_3) | instid1(VALU_DEP_4)
	v_fma_f64 v[48:49], -v[48:49], v[6:7], v[54:55]
	v_fma_f64 v[54:55], v[10:11], s[20:21], s[8:9]
	s_mov_b32 s8, 0x1a93ada1
	s_mov_b32 s9, 0xbfec2056
	v_cndmask_b32_e64 v114, 0, v1, s1
	v_cndmask_b32_e64 v113, 0, v0, s1
	v_div_fmas_f64 v[0:1], v[34:35], v[50:51], v[4:5]
	s_mov_b32 vcc_lo, s0
	s_mov_b32 s0, 0xe207c6a
	v_div_fmas_f64 v[4:5], v[48:49], v[52:53], v[6:7]
	v_mul_f64 v[6:7], v[54:55], v[113:114]
	s_mov_b32 s1, 0x4025d947
	s_delay_alu instid0(SALU_CYCLE_1) | instskip(SKIP_4) | instid1(SALU_CYCLE_1)
	v_fma_f64 v[34:35], v[10:11], s[8:9], s[0:1]
	s_mov_b32 s0, 0x749a077d
	s_mov_b32 s8, 0xf39dd3e0
	;; [unrolled: 1-line block ×4, first 2 shown]
	v_fma_f64 v[10:11], v[10:11], s[8:9], s[0:1]
	s_mov_b32 s0, 0x3fcf4f02
	s_mov_b32 s1, 0x3fb77d0a
	v_div_fixup_f64 v[0:1], v[0:1], v[14:15], s[4:5]
	v_mov_b32_e32 v14, 0
	v_mov_b32_e32 v15, 0
	v_div_fixup_f64 v[4:5], v[4:5], v[26:27], s[6:7]
	v_fma_f64 v[26:27], v[2:3], s[0:1], v[6:7]
	v_fma_f64 v[0:1], v[34:35], v[113:114], v[0:1]
	s_delay_alu instid0(VALU_DEP_3) | instskip(NEXT) | instid1(VALU_DEP_3)
	v_fma_f64 v[4:5], v[10:11], v[113:114], v[4:5]
	v_add_f64 v[2:3], v[2:3], -v[26:27]
.LBB0_104:
	s_or_b32 exec_lo, exec_lo, s3
	s_delay_alu instid0(VALU_DEP_1)
	v_dual_mov_b32 v6, v14 :: v_dual_mov_b32 v7, v15
.LBB0_105:
	s_or_b32 exec_lo, exec_lo, s2
                                        ; implicit-def: $vgpr10_vgpr11
.LBB0_106:
	s_and_not1_saveexec_b32 s0, s18
	s_cbranch_execz .LBB0_110
; %bb.107:
	v_mov_b32_e32 v14, 0
	v_mov_b32_e32 v15, 0
	s_delay_alu instid0(VALU_DEP_2) | instskip(SKIP_1) | instid1(VALU_DEP_2)
	v_mov_b32_e32 v0, v14
	s_mov_b32 s1, exec_lo
	v_mov_b32_e32 v1, v15
	v_cmpx_eq_u32_e32 0, v107
	s_cbranch_execz .LBB0_109
; %bb.108:
	v_add_f64 v[0:1], v[10:11], -0.5
	s_delay_alu instid0(VALU_DEP_1) | instskip(NEXT) | instid1(VALU_DEP_1)
	v_div_scale_f64 v[4:5], null, v[0:1], v[0:1], 0.5
	v_rcp_f64_e32 v[6:7], v[4:5]
	s_waitcnt_depctr 0xfff
	v_fma_f64 v[10:11], -v[4:5], v[6:7], 1.0
	s_delay_alu instid0(VALU_DEP_1) | instskip(NEXT) | instid1(VALU_DEP_1)
	v_fma_f64 v[6:7], v[6:7], v[10:11], v[6:7]
	v_fma_f64 v[10:11], -v[4:5], v[6:7], 1.0
	s_delay_alu instid0(VALU_DEP_1) | instskip(SKIP_1) | instid1(VALU_DEP_1)
	v_fma_f64 v[6:7], v[6:7], v[10:11], v[6:7]
	v_div_scale_f64 v[10:11], vcc_lo, 0.5, v[0:1], 0.5
	v_mul_f64 v[26:27], v[10:11], v[6:7]
	s_delay_alu instid0(VALU_DEP_1) | instskip(NEXT) | instid1(VALU_DEP_1)
	v_fma_f64 v[4:5], -v[4:5], v[26:27], v[10:11]
	v_div_fmas_f64 v[4:5], v[4:5], v[6:7], v[26:27]
	s_delay_alu instid0(VALU_DEP_1)
	v_div_fixup_f64 v[0:1], v[4:5], v[0:1], 0.5
.LBB0_109:
	s_or_b32 exec_lo, exec_lo, s1
	v_dual_mov_b32 v27, v15 :: v_dual_mov_b32 v26, v14
	v_dual_mov_b32 v6, v14 :: v_dual_mov_b32 v7, v15
	;; [unrolled: 1-line block ×3, first 2 shown]
.LBB0_110:
	s_or_b32 exec_lo, exec_lo, s0
                                        ; implicit-def: $vgpr10_vgpr11
.LBB0_111:
	s_and_not1_saveexec_b32 s4, s17
	s_cbranch_execz .LBB0_129
; %bb.112:
	s_mov_b32 s0, 0xb4d0174d
	s_mov_b32 s1, 0x3fc91e26
	;; [unrolled: 1-line block ×3, first 2 shown]
	v_div_scale_f64 v[0:1], null, v[10:11], v[10:11], s[0:1]
	v_div_scale_f64 v[6:7], vcc_lo, s[0:1], v[10:11], s[0:1]
	s_mov_b32 s3, 0x3fe921fb
	s_mov_b32 s6, 0xfefa39ef
	;; [unrolled: 1-line block ×3, first 2 shown]
	s_delay_alu instid0(VALU_DEP_2) | instskip(SKIP_2) | instid1(VALU_DEP_1)
	v_rcp_f64_e32 v[2:3], v[0:1]
	s_waitcnt_depctr 0xfff
	v_fma_f64 v[4:5], -v[0:1], v[2:3], 1.0
	v_fma_f64 v[2:3], v[2:3], v[4:5], v[2:3]
	s_delay_alu instid0(VALU_DEP_1) | instskip(NEXT) | instid1(VALU_DEP_1)
	v_fma_f64 v[4:5], -v[0:1], v[2:3], 1.0
	v_fma_f64 v[2:3], v[2:3], v[4:5], v[2:3]
	s_delay_alu instid0(VALU_DEP_1) | instskip(NEXT) | instid1(VALU_DEP_1)
	v_mul_f64 v[4:5], v[6:7], v[2:3]
	v_fma_f64 v[0:1], -v[0:1], v[4:5], v[6:7]
	s_delay_alu instid0(VALU_DEP_1) | instskip(SKIP_1) | instid1(VALU_DEP_2)
	v_div_fmas_f64 v[0:1], v[0:1], v[2:3], v[4:5]
	v_div_scale_f64 v[4:5], null, v[10:11], v[10:11], s[2:3]
	v_div_fixup_f64 v[0:1], v[0:1], v[10:11], s[0:1]
	s_mov_b32 s0, 0x80245b5f
	s_mov_b32 s1, 0xbfdfce11
	s_delay_alu instid0(VALU_DEP_2) | instskip(NEXT) | instid1(VALU_DEP_1)
	v_rcp_f64_e32 v[14:15], v[4:5]
	v_add_f64 v[0:1], v[0:1], s[0:1]
	s_mov_b32 s0, 0x652b82fe
	s_mov_b32 s1, 0xbff71547
	s_delay_alu instid0(SALU_CYCLE_1) | instskip(SKIP_4) | instid1(VALU_DEP_3)
	v_mul_f64 v[48:49], v[10:11], s[0:1]
	s_waitcnt_depctr 0xfff
	v_fma_f64 v[34:35], -v[4:5], v[14:15], 1.0
	v_div_scale_f64 v[2:3], null, v[10:11], v[10:11], v[0:1]
	v_div_scale_f64 v[50:51], vcc_lo, v[0:1], v[10:11], v[0:1]
	v_fma_f64 v[14:15], v[14:15], v[34:35], v[14:15]
	s_delay_alu instid0(VALU_DEP_3) | instskip(NEXT) | instid1(VALU_DEP_1)
	v_rcp_f64_e32 v[6:7], v[2:3]
	v_fma_f64 v[34:35], -v[4:5], v[14:15], 1.0
	s_waitcnt_depctr 0xfff
	v_fma_f64 v[26:27], -v[2:3], v[6:7], 1.0
	v_fma_f64 v[14:15], v[14:15], v[34:35], v[14:15]
	v_rndne_f64_e32 v[34:35], v[48:49]
	s_delay_alu instid0(VALU_DEP_3) | instskip(NEXT) | instid1(VALU_DEP_2)
	v_fma_f64 v[6:7], v[6:7], v[26:27], v[6:7]
	v_fma_f64 v[54:55], v[34:35], s[6:7], -v[10:11]
	s_mov_b32 s6, 0x3b39803f
	s_mov_b32 s7, 0xbc7abc9e
	s_delay_alu instid0(VALU_DEP_2) | instskip(NEXT) | instid1(VALU_DEP_1)
	v_fma_f64 v[26:27], -v[2:3], v[6:7], 1.0
	v_fma_f64 v[6:7], v[6:7], v[26:27], v[6:7]
	v_div_scale_f64 v[26:27], s0, s[2:3], v[10:11], s[2:3]
	s_delay_alu instid0(VALU_DEP_2) | instskip(NEXT) | instid1(VALU_DEP_2)
	v_mul_f64 v[48:49], v[50:51], v[6:7]
	v_mul_f64 v[52:53], v[26:27], v[14:15]
	s_delay_alu instid0(VALU_DEP_2) | instskip(NEXT) | instid1(VALU_DEP_2)
	v_fma_f64 v[2:3], -v[2:3], v[48:49], v[50:51]
	v_fma_f64 v[4:5], -v[4:5], v[52:53], v[26:27]
	v_fma_f64 v[26:27], v[34:35], s[6:7], v[54:55]
	s_mov_b32 s6, 0x6a5dcb37
	s_mov_b32 s7, 0x3e5ade15
	v_cvt_i32_f64_e32 v34, v[34:35]
	s_delay_alu instid0(VALU_DEP_4) | instskip(SKIP_3) | instid1(VALU_DEP_4)
	v_div_fmas_f64 v[2:3], v[2:3], v[6:7], v[48:49]
	s_mov_b32 vcc_lo, s0
	s_mov_b32 s0, 0xfca7ab0c
	s_mov_b32 s1, 0x3e928af3
	v_div_fmas_f64 v[4:5], v[4:5], v[14:15], v[52:53]
	s_delay_alu instid0(VALU_DEP_4) | instskip(SKIP_2) | instid1(VALU_DEP_3)
	v_fma_f64 v[6:7], v[26:27], s[6:7], s[0:1]
	s_mov_b32 s0, 0x623fde64
	s_mov_b32 s1, 0x3ec71dee
	v_div_fixup_f64 v[0:1], v[2:3], v[10:11], v[0:1]
	s_delay_alu instid0(VALU_DEP_3) | instskip(NEXT) | instid1(VALU_DEP_3)
	v_div_fixup_f64 v[4:5], v[4:5], v[10:11], s[2:3]
	v_fma_f64 v[6:7], v[26:27], v[6:7], s[0:1]
	s_mov_b32 s0, 0x7c89e6b0
	s_mov_b32 s1, 0x3efa0199
	;; [unrolled: 1-line block ×4, first 2 shown]
	s_delay_alu instid0(VALU_DEP_3) | instid1(SALU_CYCLE_1)
	v_add_f64 v[0:1], v[0:1], s[2:3]
	s_delay_alu instid0(VALU_DEP_3) | instskip(NEXT) | instid1(VALU_DEP_3)
	v_cmp_gt_f64_e32 vcc_lo, 0x10000000, v[4:5]
	v_fma_f64 v[6:7], v[26:27], v[6:7], s[0:1]
	s_mov_b32 s0, 0x14761f6e
	s_mov_b32 s1, 0x3f2a01a0
	v_cndmask_b32_e64 v14, 0, 1, vcc_lo
	s_delay_alu instid0(VALU_DEP_2)
	v_fma_f64 v[6:7], v[26:27], v[6:7], s[0:1]
	s_mov_b32 s0, 0x1852b7b0
	s_mov_b32 s1, 0x3f56c16c
	s_delay_alu instid0(VALU_DEP_1) | instid1(SALU_CYCLE_1)
	v_fma_f64 v[6:7], v[26:27], v[6:7], s[0:1]
	s_mov_b32 s0, 0x11122322
	s_mov_b32 s1, 0x3f811111
	s_delay_alu instid0(VALU_DEP_1) | instid1(SALU_CYCLE_1)
	;; [unrolled: 4-line block ×5, first 2 shown]
	v_fma_f64 v[6:7], v[26:27], v[6:7], s[0:1]
	s_delay_alu instid0(VALU_DEP_1) | instskip(NEXT) | instid1(VALU_DEP_1)
	v_fma_f64 v[6:7], v[26:27], v[6:7], 1.0
	v_fma_f64 v[6:7], v[26:27], v[6:7], 1.0
	v_cndmask_b32_e64 v26, 0, 0xffffff80, vcc_lo
	v_cmp_nlt_f64_e32 vcc_lo, 0x4090cc00, v[10:11]
	s_delay_alu instid0(VALU_DEP_3) | instskip(SKIP_1) | instid1(VALU_DEP_1)
	v_ldexp_f64 v[2:3], v[6:7], v34
	v_lshlrev_b32_e32 v14, 8, v14
	v_ldexp_f64 v[4:5], v[4:5], v14
	s_delay_alu instid0(VALU_DEP_1) | instskip(SKIP_4) | instid1(VALU_DEP_1)
	v_rsq_f64_e32 v[14:15], v[4:5]
	v_cmp_class_f64_e64 s0, v[4:5], 0x260
	s_waitcnt_depctr 0xfff
	v_mul_f64 v[48:49], v[4:5], v[14:15]
	v_mul_f64 v[14:15], v[14:15], 0.5
	v_fma_f64 v[50:51], -v[14:15], v[48:49], 0.5
	s_delay_alu instid0(VALU_DEP_1) | instskip(SKIP_1) | instid1(VALU_DEP_2)
	v_fma_f64 v[48:49], v[48:49], v[50:51], v[48:49]
	v_fma_f64 v[14:15], v[14:15], v[50:51], v[14:15]
	v_fma_f64 v[50:51], -v[48:49], v[48:49], v[4:5]
	s_delay_alu instid0(VALU_DEP_1) | instskip(NEXT) | instid1(VALU_DEP_1)
	v_fma_f64 v[48:49], v[50:51], v[14:15], v[48:49]
	v_fma_f64 v[50:51], -v[48:49], v[48:49], v[4:5]
	s_delay_alu instid0(VALU_DEP_1) | instskip(SKIP_2) | instid1(VALU_DEP_3)
	v_fma_f64 v[14:15], v[50:51], v[14:15], v[48:49]
	v_dual_cndmask_b32 v49, 0, v3 :: v_dual_cndmask_b32 v48, 0, v2
	v_add_f64 v[50:51], v[10:11], v[10:11]
	v_ldexp_f64 v[6:7], v[14:15], v26
	s_delay_alu instid0(VALU_DEP_1) | instskip(NEXT) | instid1(VALU_DEP_2)
	v_cndmask_b32_e64 v3, v7, v5, s0
	v_cndmask_b32_e64 v2, v6, v4, s0
	s_mov_b32 s0, exec_lo
	s_delay_alu instid0(VALU_DEP_1) | instskip(NEXT) | instid1(VALU_DEP_1)
	v_fma_f64 v[2:3], v[0:1], v[48:49], v[2:3]
	v_add_f64 v[0:1], v[2:3], -v[48:49]
	s_delay_alu instid0(VALU_DEP_1) | instskip(NEXT) | instid1(VALU_DEP_1)
	v_div_scale_f64 v[4:5], null, v[50:51], v[50:51], v[0:1]
	v_rcp_f64_e32 v[6:7], v[4:5]
	s_waitcnt_depctr 0xfff
	v_fma_f64 v[14:15], -v[4:5], v[6:7], 1.0
	s_delay_alu instid0(VALU_DEP_1) | instskip(NEXT) | instid1(VALU_DEP_1)
	v_fma_f64 v[6:7], v[6:7], v[14:15], v[6:7]
	v_fma_f64 v[14:15], -v[4:5], v[6:7], 1.0
	s_delay_alu instid0(VALU_DEP_1) | instskip(SKIP_1) | instid1(VALU_DEP_1)
	v_fma_f64 v[6:7], v[6:7], v[14:15], v[6:7]
	v_div_scale_f64 v[14:15], vcc_lo, v[0:1], v[50:51], v[0:1]
	v_mul_f64 v[26:27], v[14:15], v[6:7]
	s_delay_alu instid0(VALU_DEP_1) | instskip(NEXT) | instid1(VALU_DEP_1)
	v_fma_f64 v[4:5], -v[4:5], v[26:27], v[14:15]
                                        ; implicit-def: $vgpr14_vgpr15
	v_div_fmas_f64 v[4:5], v[4:5], v[6:7], v[26:27]
                                        ; implicit-def: $vgpr26_vgpr27
                                        ; implicit-def: $vgpr6_vgpr7
	s_delay_alu instid0(VALU_DEP_1)
	v_div_fixup_f64 v[34:35], v[4:5], v[50:51], v[0:1]
                                        ; implicit-def: $vgpr4_vgpr5
                                        ; implicit-def: $vgpr0_vgpr1
	v_cmpx_lt_i32_e32 0, v107
	s_xor_b32 s5, exec_lo, s0
	s_cbranch_execz .LBB0_124
; %bb.113:
	s_mov_b32 s0, exec_lo
                                        ; implicit-def: $vgpr14_vgpr15
                                        ; implicit-def: $vgpr26_vgpr27
                                        ; implicit-def: $vgpr6_vgpr7
                                        ; implicit-def: $vgpr4_vgpr5
                                        ; implicit-def: $vgpr0_vgpr1
	v_cmpx_lt_i32_e32 1, v107
	s_xor_b32 s0, exec_lo, s0
	s_cbranch_execz .LBB0_121
; %bb.114:
	v_mov_b32_e32 v14, 0
	v_mov_b32_e32 v15, 0
	s_delay_alu instid0(VALU_DEP_2)
	v_mov_b32_e32 v6, v14
	v_mov_b32_e32 v4, v14
	;; [unrolled: 1-line block ×3, first 2 shown]
	s_mov_b32 s1, exec_lo
	v_mov_b32_e32 v1, v15
	v_dual_mov_b32 v27, v15 :: v_dual_mov_b32 v26, v14
	v_mov_b32_e32 v7, v15
	v_mov_b32_e32 v5, v15
	v_cmpx_eq_u32_e32 2, v107
	s_cbranch_execz .LBB0_120
; %bb.115:
	s_mov_b32 s2, exec_lo
                                        ; implicit-def: $vgpr4_vgpr5
                                        ; implicit-def: $vgpr0_vgpr1
                                        ; implicit-def: $vgpr6_vgpr7
	v_cmpx_ngt_f64_e32 0x40340000, v[10:11]
	s_xor_b32 s2, exec_lo, s2
	s_cbranch_execz .LBB0_117
; %bb.116:
	s_mov_b32 s6, 0xd1a1d69c
	s_mov_b32 s8, 0x43c565e2
	;; [unrolled: 1-line block ×4, first 2 shown]
	s_delay_alu instid0(SALU_CYCLE_1) | instskip(SKIP_4) | instid1(VALU_DEP_1)
	v_fma_f64 v[0:1], v[10:11], s[8:9], s[6:7]
	s_mov_b32 s6, 0x244805bc
	s_mov_b32 s7, 0x3ff4f9d2
	;; [unrolled: 1-line block ×4, first 2 shown]
	v_fma_f64 v[0:1], v[10:11], v[0:1], s[6:7]
	s_mov_b32 s6, 0x7dd2f38c
	s_mov_b32 s7, 0xc032d569
	s_delay_alu instid0(VALU_DEP_1) | instid1(SALU_CYCLE_1)
	v_fma_f64 v[0:1], v[10:11], v[0:1], s[6:7]
	s_mov_b32 s6, 0xea14de2
	s_mov_b32 s7, 0xc084a2c2
	s_delay_alu instid0(SALU_CYCLE_1) | instskip(NEXT) | instid1(VALU_DEP_1)
	v_div_scale_f64 v[4:5], null, v[10:11], v[10:11], s[6:7]
	v_rcp_f64_e32 v[6:7], v[4:5]
	s_waitcnt_depctr 0xfff
	v_fma_f64 v[14:15], -v[4:5], v[6:7], 1.0
	s_delay_alu instid0(VALU_DEP_1) | instskip(NEXT) | instid1(VALU_DEP_1)
	v_fma_f64 v[6:7], v[6:7], v[14:15], v[6:7]
	v_fma_f64 v[14:15], -v[4:5], v[6:7], 1.0
	s_delay_alu instid0(VALU_DEP_1) | instskip(SKIP_1) | instid1(VALU_DEP_1)
	v_fma_f64 v[6:7], v[6:7], v[14:15], v[6:7]
	v_div_scale_f64 v[14:15], vcc_lo, s[6:7], v[10:11], s[6:7]
	v_mul_f64 v[26:27], v[14:15], v[6:7]
	s_delay_alu instid0(VALU_DEP_1) | instskip(NEXT) | instid1(VALU_DEP_1)
	v_fma_f64 v[4:5], -v[4:5], v[26:27], v[14:15]
	v_div_fmas_f64 v[4:5], v[4:5], v[6:7], v[26:27]
	s_delay_alu instid0(VALU_DEP_1) | instskip(SKIP_2) | instid1(VALU_DEP_1)
	v_div_fixup_f64 v[4:5], v[4:5], v[10:11], s[6:7]
	s_mov_b32 s6, 0x8a43a1c2
	s_mov_b32 s7, 0x40649dce
	v_fma_f64 v[0:1], v[10:11], v[0:1], v[4:5]
	s_delay_alu instid0(VALU_DEP_1) | instskip(SKIP_2) | instid1(SALU_CYCLE_1)
	v_add_f64 v[0:1], v[0:1], s[6:7]
	s_mov_b32 s7, 0xbfc85747
	s_mov_b32 s6, 0x227076b0
	v_add_f64 v[4:5], v[10:11], s[6:7]
	s_mov_b32 s7, 0x3fc85747
	s_delay_alu instid0(VALU_DEP_1) | instid1(SALU_CYCLE_1)
	v_div_scale_f64 v[6:7], null, v[4:5], v[4:5], s[6:7]
	s_delay_alu instid0(VALU_DEP_1) | instskip(SKIP_2) | instid1(VALU_DEP_1)
	v_rcp_f64_e32 v[14:15], v[6:7]
	s_waitcnt_depctr 0xfff
	v_fma_f64 v[26:27], -v[6:7], v[14:15], 1.0
	v_fma_f64 v[14:15], v[14:15], v[26:27], v[14:15]
	s_delay_alu instid0(VALU_DEP_1) | instskip(NEXT) | instid1(VALU_DEP_1)
	v_fma_f64 v[26:27], -v[6:7], v[14:15], 1.0
	v_fma_f64 v[14:15], v[14:15], v[26:27], v[14:15]
	v_div_scale_f64 v[26:27], vcc_lo, s[6:7], v[4:5], s[6:7]
	s_delay_alu instid0(VALU_DEP_1) | instskip(NEXT) | instid1(VALU_DEP_1)
	v_mul_f64 v[52:53], v[26:27], v[14:15]
	v_fma_f64 v[6:7], -v[6:7], v[52:53], v[26:27]
	s_delay_alu instid0(VALU_DEP_1) | instskip(NEXT) | instid1(VALU_DEP_1)
	v_div_fmas_f64 v[6:7], v[6:7], v[14:15], v[52:53]
	v_div_fixup_f64 v[4:5], v[6:7], v[4:5], s[6:7]
	s_mov_b32 s6, 0x43d051e1
	s_mov_b32 s7, 0xbfe08e52
	s_delay_alu instid0(VALU_DEP_1)
	v_fma_f64 v[0:1], v[0:1], v[48:49], v[4:5]
	v_fma_f64 v[4:5], v[10:11], s[8:9], s[6:7]
	s_mov_b32 s6, 0x71f2e80a
	s_mov_b32 s7, 0x4026bcfb
	;; [unrolled: 1-line block ×4, first 2 shown]
	s_delay_alu instid0(VALU_DEP_1)
	v_fma_f64 v[4:5], v[10:11], v[4:5], s[6:7]
	s_mov_b32 s6, 0x2b1324d
	s_mov_b32 s7, 0xc064ada5
	s_delay_alu instid0(VALU_DEP_1) | instid1(SALU_CYCLE_1)
	v_fma_f64 v[4:5], v[10:11], v[4:5], s[6:7]
	s_mov_b32 s6, 0x5c9c2ca2
	s_mov_b32 s7, 0xc0b8a517
	s_delay_alu instid0(SALU_CYCLE_1) | instskip(NEXT) | instid1(VALU_DEP_1)
	v_div_scale_f64 v[6:7], null, v[10:11], v[10:11], s[6:7]
	v_rcp_f64_e32 v[14:15], v[6:7]
	s_waitcnt_depctr 0xfff
	v_fma_f64 v[26:27], -v[6:7], v[14:15], 1.0
	s_delay_alu instid0(VALU_DEP_1) | instskip(NEXT) | instid1(VALU_DEP_1)
	v_fma_f64 v[14:15], v[14:15], v[26:27], v[14:15]
	v_fma_f64 v[26:27], -v[6:7], v[14:15], 1.0
	s_delay_alu instid0(VALU_DEP_1) | instskip(SKIP_1) | instid1(VALU_DEP_1)
	v_fma_f64 v[14:15], v[14:15], v[26:27], v[14:15]
	v_div_scale_f64 v[26:27], vcc_lo, s[6:7], v[10:11], s[6:7]
	v_mul_f64 v[52:53], v[26:27], v[14:15]
	s_delay_alu instid0(VALU_DEP_1) | instskip(NEXT) | instid1(VALU_DEP_1)
	v_fma_f64 v[6:7], -v[6:7], v[52:53], v[26:27]
	v_div_fmas_f64 v[6:7], v[6:7], v[14:15], v[52:53]
	s_delay_alu instid0(VALU_DEP_1) | instskip(SKIP_2) | instid1(VALU_DEP_1)
	v_div_fixup_f64 v[6:7], v[6:7], v[10:11], s[6:7]
	s_mov_b32 s6, 0x32ede694
	s_mov_b32 s7, 0x4097c945
	v_fma_f64 v[4:5], v[10:11], v[4:5], v[6:7]
	s_delay_alu instid0(VALU_DEP_1) | instskip(SKIP_2) | instid1(SALU_CYCLE_1)
	v_add_f64 v[4:5], v[4:5], s[6:7]
	s_mov_b32 s7, 0xbffc8d48
	s_mov_b32 s6, 0x44af141d
	v_add_f64 v[6:7], v[10:11], s[6:7]
	s_mov_b32 s7, 0x3ffc8d48
	s_delay_alu instid0(VALU_DEP_1) | instid1(SALU_CYCLE_1)
	v_div_scale_f64 v[14:15], null, v[6:7], v[6:7], s[6:7]
	s_delay_alu instid0(VALU_DEP_1) | instskip(SKIP_2) | instid1(VALU_DEP_1)
	v_rcp_f64_e32 v[26:27], v[14:15]
	s_waitcnt_depctr 0xfff
	v_fma_f64 v[52:53], -v[14:15], v[26:27], 1.0
	v_fma_f64 v[26:27], v[26:27], v[52:53], v[26:27]
	s_delay_alu instid0(VALU_DEP_1) | instskip(NEXT) | instid1(VALU_DEP_1)
	v_fma_f64 v[52:53], -v[14:15], v[26:27], 1.0
	v_fma_f64 v[26:27], v[26:27], v[52:53], v[26:27]
	v_div_scale_f64 v[52:53], vcc_lo, s[6:7], v[6:7], s[6:7]
	s_delay_alu instid0(VALU_DEP_1) | instskip(NEXT) | instid1(VALU_DEP_1)
	v_mul_f64 v[54:55], v[52:53], v[26:27]
	v_fma_f64 v[14:15], -v[14:15], v[54:55], v[52:53]
	s_delay_alu instid0(VALU_DEP_1) | instskip(NEXT) | instid1(VALU_DEP_1)
	v_div_fmas_f64 v[14:15], v[14:15], v[26:27], v[54:55]
	v_div_fixup_f64 v[6:7], v[14:15], v[6:7], s[6:7]
	s_mov_b32 s6, 0x5839f8b4
	s_mov_b32 s7, 0xbffc5df0
	s_delay_alu instid0(VALU_DEP_1)
	v_fma_f64 v[4:5], v[4:5], v[48:49], v[6:7]
	v_fma_f64 v[6:7], v[10:11], s[8:9], s[6:7]
	s_mov_b32 s6, 0xe792fa1f
	s_mov_b32 s7, 0x40315d28
	s_delay_alu instid0(VALU_DEP_1) | instid1(SALU_CYCLE_1)
	v_fma_f64 v[6:7], v[10:11], v[6:7], s[6:7]
	s_mov_b32 s6, 0x8a41e8b7
	s_mov_b32 s7, 0xc07659d7
	s_delay_alu instid0(VALU_DEP_1) | instid1(SALU_CYCLE_1)
	v_fma_f64 v[6:7], v[10:11], v[6:7], s[6:7]
	s_mov_b32 s6, 0x2c8d13df
	s_mov_b32 s7, 0xc0cc76bc
	s_delay_alu instid0(SALU_CYCLE_1) | instskip(NEXT) | instid1(VALU_DEP_1)
	v_div_scale_f64 v[14:15], null, v[10:11], v[10:11], s[6:7]
	v_rcp_f64_e32 v[26:27], v[14:15]
	s_waitcnt_depctr 0xfff
	v_fma_f64 v[52:53], -v[14:15], v[26:27], 1.0
	s_delay_alu instid0(VALU_DEP_1) | instskip(NEXT) | instid1(VALU_DEP_1)
	v_fma_f64 v[26:27], v[26:27], v[52:53], v[26:27]
	v_fma_f64 v[52:53], -v[14:15], v[26:27], 1.0
	s_delay_alu instid0(VALU_DEP_1) | instskip(SKIP_1) | instid1(VALU_DEP_1)
	v_fma_f64 v[26:27], v[26:27], v[52:53], v[26:27]
	v_div_scale_f64 v[52:53], vcc_lo, s[6:7], v[10:11], s[6:7]
	v_mul_f64 v[54:55], v[52:53], v[26:27]
	s_delay_alu instid0(VALU_DEP_1) | instskip(NEXT) | instid1(VALU_DEP_1)
	v_fma_f64 v[14:15], -v[14:15], v[54:55], v[52:53]
	v_div_fmas_f64 v[14:15], v[14:15], v[26:27], v[54:55]
	s_delay_alu instid0(VALU_DEP_1) | instskip(SKIP_2) | instid1(VALU_DEP_1)
	v_div_fixup_f64 v[14:15], v[14:15], v[10:11], s[6:7]
	s_mov_b32 s6, 0xe32ed6f6
	s_mov_b32 s7, 0x40a514a2
	v_fma_f64 v[6:7], v[10:11], v[6:7], v[14:15]
	s_delay_alu instid0(VALU_DEP_1)
	v_add_f64 v[6:7], v[6:7], s[6:7]
.LBB0_117:
	s_and_not1_saveexec_b32 s2, s2
	s_cbranch_execz .LBB0_119
; %bb.118:
	s_mov_b32 s6, 0xcdc8f5a5
	s_mov_b32 s8, 0x6916718b
	;; [unrolled: 1-line block ×4, first 2 shown]
	s_delay_alu instid0(SALU_CYCLE_1) | instskip(SKIP_4) | instid1(VALU_DEP_1)
	v_fma_f64 v[0:1], v[10:11], s[8:9], s[6:7]
	s_mov_b32 s6, 0xd417330e
	s_mov_b32 s7, 0xbf97f91d
	;; [unrolled: 1-line block ×4, first 2 shown]
	v_fma_f64 v[0:1], v[10:11], v[0:1], s[6:7]
	s_mov_b32 s6, 0x4e35aec3
	s_mov_b32 s7, 0x3fe9016f
	s_delay_alu instid0(VALU_DEP_1) | instid1(SALU_CYCLE_1)
	v_fma_f64 v[0:1], v[10:11], v[0:1], s[6:7]
	s_mov_b32 s6, 0xeeb9b55a
	s_mov_b32 s7, 0xc0315227
	s_delay_alu instid0(VALU_DEP_1) | instid1(SALU_CYCLE_1)
	;; [unrolled: 4-line block ×3, first 2 shown]
	v_fma_f64 v[0:1], v[10:11], v[0:1], s[6:7]
	s_mov_b32 s6, 0xddb8407a
	s_mov_b32 s7, 0xc0d34c49
	s_delay_alu instid0(SALU_CYCLE_1) | instskip(NEXT) | instid1(VALU_DEP_1)
	v_div_scale_f64 v[4:5], null, v[10:11], v[10:11], s[6:7]
	v_rcp_f64_e32 v[6:7], v[4:5]
	s_waitcnt_depctr 0xfff
	v_fma_f64 v[14:15], -v[4:5], v[6:7], 1.0
	s_delay_alu instid0(VALU_DEP_1) | instskip(NEXT) | instid1(VALU_DEP_1)
	v_fma_f64 v[6:7], v[6:7], v[14:15], v[6:7]
	v_fma_f64 v[14:15], -v[4:5], v[6:7], 1.0
	s_delay_alu instid0(VALU_DEP_1) | instskip(SKIP_1) | instid1(VALU_DEP_1)
	v_fma_f64 v[6:7], v[6:7], v[14:15], v[6:7]
	v_div_scale_f64 v[14:15], vcc_lo, s[6:7], v[10:11], s[6:7]
	v_mul_f64 v[26:27], v[14:15], v[6:7]
	s_delay_alu instid0(VALU_DEP_1) | instskip(NEXT) | instid1(VALU_DEP_1)
	v_fma_f64 v[4:5], -v[4:5], v[26:27], v[14:15]
	v_div_fmas_f64 v[4:5], v[4:5], v[6:7], v[26:27]
	s_delay_alu instid0(VALU_DEP_1)
	v_div_fixup_f64 v[4:5], v[4:5], v[10:11], s[6:7]
	s_mov_b32 s6, 0xf1fad81f
	s_mov_b32 s7, 0x40c33034
	s_delay_alu instid0(VALU_DEP_1) | instid1(SALU_CYCLE_1)
	v_add_f64 v[4:5], v[4:5], s[6:7]
	s_mov_b32 s6, 0xebf84c5c
	s_mov_b32 s7, 0xc0a03f69
	s_delay_alu instid0(VALU_DEP_1) | instskip(NEXT) | instid1(VALU_DEP_1)
	v_div_scale_f64 v[6:7], null, v[10:11], v[10:11], v[4:5]
	v_rcp_f64_e32 v[14:15], v[6:7]
	s_waitcnt_depctr 0xfff
	v_fma_f64 v[26:27], -v[6:7], v[14:15], 1.0
	s_delay_alu instid0(VALU_DEP_1) | instskip(NEXT) | instid1(VALU_DEP_1)
	v_fma_f64 v[14:15], v[14:15], v[26:27], v[14:15]
	v_fma_f64 v[26:27], -v[6:7], v[14:15], 1.0
	s_delay_alu instid0(VALU_DEP_1) | instskip(SKIP_1) | instid1(VALU_DEP_1)
	v_fma_f64 v[14:15], v[14:15], v[26:27], v[14:15]
	v_div_scale_f64 v[26:27], vcc_lo, v[4:5], v[10:11], v[4:5]
	v_mul_f64 v[52:53], v[26:27], v[14:15]
	s_delay_alu instid0(VALU_DEP_1) | instskip(NEXT) | instid1(VALU_DEP_1)
	v_fma_f64 v[6:7], -v[6:7], v[52:53], v[26:27]
	v_div_fmas_f64 v[6:7], v[6:7], v[14:15], v[52:53]
	s_delay_alu instid0(VALU_DEP_1) | instskip(NEXT) | instid1(VALU_DEP_1)
	v_div_fixup_f64 v[4:5], v[6:7], v[10:11], v[4:5]
	v_fma_f64 v[0:1], v[10:11], v[0:1], v[4:5]
	s_delay_alu instid0(VALU_DEP_1) | instskip(SKIP_2) | instid1(SALU_CYCLE_1)
	v_add_f64 v[0:1], v[0:1], s[6:7]
	s_mov_b32 s7, 0xbfc85747
	s_mov_b32 s6, 0x227076b0
	v_add_f64 v[4:5], v[10:11], s[6:7]
	s_mov_b32 s7, 0x3fc85747
	s_delay_alu instid0(VALU_DEP_1) | instid1(SALU_CYCLE_1)
	v_div_scale_f64 v[6:7], null, v[4:5], v[4:5], s[6:7]
	s_delay_alu instid0(VALU_DEP_1) | instskip(SKIP_2) | instid1(VALU_DEP_1)
	v_rcp_f64_e32 v[14:15], v[6:7]
	s_waitcnt_depctr 0xfff
	v_fma_f64 v[26:27], -v[6:7], v[14:15], 1.0
	v_fma_f64 v[14:15], v[14:15], v[26:27], v[14:15]
	s_delay_alu instid0(VALU_DEP_1) | instskip(NEXT) | instid1(VALU_DEP_1)
	v_fma_f64 v[26:27], -v[6:7], v[14:15], 1.0
	v_fma_f64 v[14:15], v[14:15], v[26:27], v[14:15]
	v_div_scale_f64 v[26:27], vcc_lo, s[6:7], v[4:5], s[6:7]
	s_delay_alu instid0(VALU_DEP_1) | instskip(NEXT) | instid1(VALU_DEP_1)
	v_mul_f64 v[52:53], v[26:27], v[14:15]
	v_fma_f64 v[6:7], -v[6:7], v[52:53], v[26:27]
	s_delay_alu instid0(VALU_DEP_1) | instskip(NEXT) | instid1(VALU_DEP_1)
	v_div_fmas_f64 v[6:7], v[6:7], v[14:15], v[52:53]
	v_div_fixup_f64 v[4:5], v[6:7], v[4:5], s[6:7]
	s_mov_b32 s6, 0x3ff9717c
	s_mov_b32 s7, 0x3fa1e0e0
	s_delay_alu instid0(VALU_DEP_1)
	v_fma_f64 v[0:1], v[0:1], v[48:49], v[4:5]
	v_fma_f64 v[4:5], v[10:11], s[8:9], s[6:7]
	s_mov_b32 s6, 0x3b61349
	s_mov_b32 s7, 0xc008bf3c
	;; [unrolled: 1-line block ×4, first 2 shown]
	s_delay_alu instid0(VALU_DEP_1)
	v_fma_f64 v[4:5], v[10:11], v[4:5], s[6:7]
	s_mov_b32 s6, 0x84b0a871
	s_mov_b32 s7, 0x405ac260
	s_delay_alu instid0(VALU_DEP_1) | instid1(SALU_CYCLE_1)
	v_fma_f64 v[4:5], v[10:11], v[4:5], s[6:7]
	s_mov_b32 s6, 0x57bb853e
	s_mov_b32 s7, 0xc0a27d31
	s_delay_alu instid0(VALU_DEP_1) | instid1(SALU_CYCLE_1)
	v_fma_f64 v[4:5], v[10:11], v[4:5], s[6:7]
	s_mov_b32 s6, 0x9182ff23
	s_mov_b32 s7, 0xc14640a9
	s_delay_alu instid0(SALU_CYCLE_1) | instskip(NEXT) | instid1(VALU_DEP_1)
	v_div_scale_f64 v[6:7], null, v[10:11], v[10:11], s[6:7]
	v_rcp_f64_e32 v[14:15], v[6:7]
	s_waitcnt_depctr 0xfff
	v_fma_f64 v[26:27], -v[6:7], v[14:15], 1.0
	s_delay_alu instid0(VALU_DEP_1) | instskip(NEXT) | instid1(VALU_DEP_1)
	v_fma_f64 v[14:15], v[14:15], v[26:27], v[14:15]
	v_fma_f64 v[26:27], -v[6:7], v[14:15], 1.0
	s_delay_alu instid0(VALU_DEP_1) | instskip(SKIP_1) | instid1(VALU_DEP_1)
	v_fma_f64 v[14:15], v[14:15], v[26:27], v[14:15]
	v_div_scale_f64 v[26:27], vcc_lo, s[6:7], v[10:11], s[6:7]
	v_mul_f64 v[52:53], v[26:27], v[14:15]
	s_delay_alu instid0(VALU_DEP_1) | instskip(NEXT) | instid1(VALU_DEP_1)
	v_fma_f64 v[6:7], -v[6:7], v[52:53], v[26:27]
	v_div_fmas_f64 v[6:7], v[6:7], v[14:15], v[52:53]
	s_delay_alu instid0(VALU_DEP_1)
	v_div_fixup_f64 v[6:7], v[6:7], v[10:11], s[6:7]
	s_mov_b32 s6, 0xd790047
	s_mov_b32 s7, 0x413588df
	s_delay_alu instid0(VALU_DEP_1) | instid1(SALU_CYCLE_1)
	v_add_f64 v[6:7], v[6:7], s[6:7]
	s_mov_b32 s6, 0x577bf3db
	s_mov_b32 s7, 0xc111cb31
	s_delay_alu instid0(VALU_DEP_1) | instskip(NEXT) | instid1(VALU_DEP_1)
	v_div_scale_f64 v[14:15], null, v[10:11], v[10:11], v[6:7]
	v_rcp_f64_e32 v[26:27], v[14:15]
	s_waitcnt_depctr 0xfff
	v_fma_f64 v[52:53], -v[14:15], v[26:27], 1.0
	s_delay_alu instid0(VALU_DEP_1) | instskip(NEXT) | instid1(VALU_DEP_1)
	v_fma_f64 v[26:27], v[26:27], v[52:53], v[26:27]
	v_fma_f64 v[52:53], -v[14:15], v[26:27], 1.0
	s_delay_alu instid0(VALU_DEP_1) | instskip(SKIP_1) | instid1(VALU_DEP_1)
	v_fma_f64 v[26:27], v[26:27], v[52:53], v[26:27]
	v_div_scale_f64 v[52:53], vcc_lo, v[6:7], v[10:11], v[6:7]
	v_mul_f64 v[54:55], v[52:53], v[26:27]
	s_delay_alu instid0(VALU_DEP_1) | instskip(NEXT) | instid1(VALU_DEP_1)
	v_fma_f64 v[14:15], -v[14:15], v[54:55], v[52:53]
	v_div_fmas_f64 v[14:15], v[14:15], v[26:27], v[54:55]
	s_delay_alu instid0(VALU_DEP_1) | instskip(NEXT) | instid1(VALU_DEP_1)
	v_div_fixup_f64 v[6:7], v[14:15], v[10:11], v[6:7]
	v_add_f64 v[6:7], v[6:7], s[6:7]
	s_mov_b32 s6, 0x316d409b
	s_mov_b32 s7, 0x40e05e09
	s_delay_alu instid0(VALU_DEP_1) | instskip(NEXT) | instid1(VALU_DEP_1)
	v_div_scale_f64 v[14:15], null, v[10:11], v[10:11], v[6:7]
	v_rcp_f64_e32 v[26:27], v[14:15]
	s_waitcnt_depctr 0xfff
	v_fma_f64 v[52:53], -v[14:15], v[26:27], 1.0
	s_delay_alu instid0(VALU_DEP_1) | instskip(NEXT) | instid1(VALU_DEP_1)
	v_fma_f64 v[26:27], v[26:27], v[52:53], v[26:27]
	v_fma_f64 v[52:53], -v[14:15], v[26:27], 1.0
	s_delay_alu instid0(VALU_DEP_1) | instskip(SKIP_1) | instid1(VALU_DEP_1)
	v_fma_f64 v[26:27], v[26:27], v[52:53], v[26:27]
	v_div_scale_f64 v[52:53], vcc_lo, v[6:7], v[10:11], v[6:7]
	v_mul_f64 v[54:55], v[52:53], v[26:27]
	s_delay_alu instid0(VALU_DEP_1) | instskip(NEXT) | instid1(VALU_DEP_1)
	v_fma_f64 v[14:15], -v[14:15], v[54:55], v[52:53]
	v_div_fmas_f64 v[14:15], v[14:15], v[26:27], v[54:55]
	s_delay_alu instid0(VALU_DEP_1) | instskip(NEXT) | instid1(VALU_DEP_1)
	v_div_fixup_f64 v[6:7], v[14:15], v[10:11], v[6:7]
	v_fma_f64 v[4:5], v[10:11], v[4:5], v[6:7]
	s_delay_alu instid0(VALU_DEP_1) | instskip(SKIP_2) | instid1(SALU_CYCLE_1)
	v_add_f64 v[4:5], v[4:5], s[6:7]
	s_mov_b32 s7, 0xbffc8d48
	s_mov_b32 s6, 0x44af141d
	v_add_f64 v[6:7], v[10:11], s[6:7]
	s_mov_b32 s7, 0x3ffc8d48
	s_delay_alu instid0(VALU_DEP_1) | instid1(SALU_CYCLE_1)
	v_div_scale_f64 v[14:15], null, v[6:7], v[6:7], s[6:7]
	s_delay_alu instid0(VALU_DEP_1) | instskip(SKIP_2) | instid1(VALU_DEP_1)
	v_rcp_f64_e32 v[26:27], v[14:15]
	s_waitcnt_depctr 0xfff
	v_fma_f64 v[52:53], -v[14:15], v[26:27], 1.0
	v_fma_f64 v[26:27], v[26:27], v[52:53], v[26:27]
	s_delay_alu instid0(VALU_DEP_1) | instskip(NEXT) | instid1(VALU_DEP_1)
	v_fma_f64 v[52:53], -v[14:15], v[26:27], 1.0
	v_fma_f64 v[26:27], v[26:27], v[52:53], v[26:27]
	v_div_scale_f64 v[52:53], vcc_lo, s[6:7], v[6:7], s[6:7]
	s_delay_alu instid0(VALU_DEP_1) | instskip(NEXT) | instid1(VALU_DEP_1)
	v_mul_f64 v[54:55], v[52:53], v[26:27]
	v_fma_f64 v[14:15], -v[14:15], v[54:55], v[52:53]
	s_delay_alu instid0(VALU_DEP_1) | instskip(NEXT) | instid1(VALU_DEP_1)
	v_div_fmas_f64 v[14:15], v[14:15], v[26:27], v[54:55]
	v_div_fixup_f64 v[6:7], v[14:15], v[6:7], s[6:7]
	s_mov_b32 s6, 0xb3b37cd8
	s_mov_b32 s7, 0xbf9d644d
	s_delay_alu instid0(VALU_DEP_1)
	v_fma_f64 v[4:5], v[4:5], v[48:49], v[6:7]
	v_fma_f64 v[6:7], v[10:11], s[8:9], s[6:7]
	s_mov_b32 s6, 0x58db5abf
	s_mov_b32 s7, 0xbfe91276
	s_delay_alu instid0(VALU_DEP_1) | instid1(SALU_CYCLE_1)
	v_fma_f64 v[6:7], v[10:11], v[6:7], s[6:7]
	s_mov_b32 s6, 0x6458880d
	s_mov_b32 s7, 0xc0326f13
	s_delay_alu instid0(VALU_DEP_1) | instid1(SALU_CYCLE_1)
	;; [unrolled: 4-line block ×3, first 2 shown]
	v_fma_f64 v[6:7], v[10:11], v[6:7], s[6:7]
	s_mov_b32 s6, 0x1313d2ce
	s_mov_b32 s7, 0xc1072c2c
	s_delay_alu instid0(SALU_CYCLE_1) | instskip(NEXT) | instid1(VALU_DEP_1)
	v_div_scale_f64 v[14:15], null, v[10:11], v[10:11], s[6:7]
	v_rcp_f64_e32 v[26:27], v[14:15]
	s_waitcnt_depctr 0xfff
	v_fma_f64 v[52:53], -v[14:15], v[26:27], 1.0
	s_delay_alu instid0(VALU_DEP_1) | instskip(NEXT) | instid1(VALU_DEP_1)
	v_fma_f64 v[26:27], v[26:27], v[52:53], v[26:27]
	v_fma_f64 v[52:53], -v[14:15], v[26:27], 1.0
	s_delay_alu instid0(VALU_DEP_1) | instskip(SKIP_1) | instid1(VALU_DEP_1)
	v_fma_f64 v[26:27], v[26:27], v[52:53], v[26:27]
	v_div_scale_f64 v[52:53], vcc_lo, s[6:7], v[10:11], s[6:7]
	v_mul_f64 v[54:55], v[52:53], v[26:27]
	s_delay_alu instid0(VALU_DEP_1) | instskip(NEXT) | instid1(VALU_DEP_1)
	v_fma_f64 v[14:15], -v[14:15], v[54:55], v[52:53]
	v_div_fmas_f64 v[14:15], v[14:15], v[26:27], v[54:55]
	s_delay_alu instid0(VALU_DEP_1)
	v_div_fixup_f64 v[14:15], v[14:15], v[10:11], s[6:7]
	s_mov_b32 s6, 0xd9c89bfe
	s_mov_b32 s7, 0x40e8f9ba
	s_delay_alu instid0(VALU_DEP_1) | instid1(SALU_CYCLE_1)
	v_add_f64 v[14:15], v[14:15], s[6:7]
	s_mov_b32 s6, 0x4dc4ad02
	s_mov_b32 s7, 0xc0bae175
	s_delay_alu instid0(VALU_DEP_1) | instskip(NEXT) | instid1(VALU_DEP_1)
	v_div_scale_f64 v[26:27], null, v[10:11], v[10:11], v[14:15]
	v_rcp_f64_e32 v[52:53], v[26:27]
	s_waitcnt_depctr 0xfff
	v_fma_f64 v[54:55], -v[26:27], v[52:53], 1.0
	s_delay_alu instid0(VALU_DEP_1) | instskip(NEXT) | instid1(VALU_DEP_1)
	v_fma_f64 v[52:53], v[52:53], v[54:55], v[52:53]
	v_fma_f64 v[54:55], -v[26:27], v[52:53], 1.0
	s_delay_alu instid0(VALU_DEP_1) | instskip(SKIP_1) | instid1(VALU_DEP_1)
	v_fma_f64 v[52:53], v[52:53], v[54:55], v[52:53]
	v_div_scale_f64 v[54:55], vcc_lo, v[14:15], v[10:11], v[14:15]
	v_mul_f64 v[113:114], v[54:55], v[52:53]
	s_delay_alu instid0(VALU_DEP_1) | instskip(NEXT) | instid1(VALU_DEP_1)
	v_fma_f64 v[26:27], -v[26:27], v[113:114], v[54:55]
	v_div_fmas_f64 v[26:27], v[26:27], v[52:53], v[113:114]
	s_delay_alu instid0(VALU_DEP_1) | instskip(NEXT) | instid1(VALU_DEP_1)
	v_div_fixup_f64 v[14:15], v[26:27], v[10:11], v[14:15]
	v_fma_f64 v[6:7], v[10:11], v[6:7], v[14:15]
	s_delay_alu instid0(VALU_DEP_1)
	v_add_f64 v[6:7], v[6:7], s[6:7]
.LBB0_119:
	s_or_b32 exec_lo, exec_lo, s2
	v_fma_f64 v[14:15], v[34:35], 2.0, v[34:35]
	s_mov_b32 s3, 0xc01619f3
	s_mov_b32 s2, 0xb5c0b740
	s_delay_alu instid0(SALU_CYCLE_1) | instskip(SKIP_1) | instid1(VALU_DEP_2)
	v_add_f64 v[10:11], v[10:11], s[2:3]
	s_mov_b32 s3, 0x401619f3
	v_add_f64 v[14:15], v[14:15], -v[48:49]
	s_delay_alu instid0(VALU_DEP_1) | instskip(NEXT) | instid1(VALU_DEP_1)
	v_div_scale_f64 v[26:27], null, v[50:51], v[50:51], v[14:15]
	v_rcp_f64_e32 v[52:53], v[26:27]
	s_waitcnt_depctr 0xfff
	v_fma_f64 v[54:55], -v[26:27], v[52:53], 1.0
	s_delay_alu instid0(VALU_DEP_1) | instskip(NEXT) | instid1(VALU_DEP_1)
	v_fma_f64 v[52:53], v[52:53], v[54:55], v[52:53]
	v_fma_f64 v[54:55], -v[26:27], v[52:53], 1.0
	s_delay_alu instid0(VALU_DEP_1) | instskip(SKIP_1) | instid1(VALU_DEP_1)
	v_fma_f64 v[52:53], v[52:53], v[54:55], v[52:53]
	v_div_scale_f64 v[54:55], vcc_lo, v[14:15], v[50:51], v[14:15]
	v_mul_f64 v[113:114], v[54:55], v[52:53]
	s_delay_alu instid0(VALU_DEP_1) | instskip(NEXT) | instid1(VALU_DEP_1)
	v_fma_f64 v[26:27], -v[26:27], v[113:114], v[54:55]
	v_div_fmas_f64 v[26:27], v[26:27], v[52:53], v[113:114]
	s_delay_alu instid0(VALU_DEP_1) | instskip(SKIP_1) | instid1(VALU_DEP_1)
	v_div_fixup_f64 v[14:15], v[26:27], v[50:51], v[14:15]
	v_div_scale_f64 v[26:27], null, v[10:11], v[10:11], s[2:3]
	v_rcp_f64_e32 v[50:51], v[26:27]
	s_waitcnt_depctr 0xfff
	v_fma_f64 v[52:53], -v[26:27], v[50:51], 1.0
	s_delay_alu instid0(VALU_DEP_1) | instskip(NEXT) | instid1(VALU_DEP_1)
	v_fma_f64 v[50:51], v[50:51], v[52:53], v[50:51]
	v_fma_f64 v[52:53], -v[26:27], v[50:51], 1.0
	s_delay_alu instid0(VALU_DEP_1) | instskip(SKIP_1) | instid1(VALU_DEP_1)
	v_fma_f64 v[50:51], v[50:51], v[52:53], v[50:51]
	v_div_scale_f64 v[52:53], vcc_lo, s[2:3], v[10:11], s[2:3]
	v_mul_f64 v[54:55], v[52:53], v[50:51]
	s_delay_alu instid0(VALU_DEP_1) | instskip(NEXT) | instid1(VALU_DEP_1)
	v_fma_f64 v[26:27], -v[26:27], v[54:55], v[52:53]
	v_div_fmas_f64 v[26:27], v[26:27], v[50:51], v[54:55]
	s_delay_alu instid0(VALU_DEP_1) | instskip(NEXT) | instid1(VALU_DEP_1)
	v_div_fixup_f64 v[10:11], v[26:27], v[10:11], s[2:3]
	v_fma_f64 v[6:7], v[48:49], v[6:7], v[10:11]
	v_add_f64 v[10:11], v[0:1], 1.0
	s_delay_alu instid0(VALU_DEP_1) | instskip(NEXT) | instid1(VALU_DEP_1)
	v_div_scale_f64 v[26:27], null, v[10:11], v[10:11], v[0:1]
	v_rcp_f64_e32 v[48:49], v[26:27]
	s_waitcnt_depctr 0xfff
	v_fma_f64 v[50:51], -v[26:27], v[48:49], 1.0
	s_delay_alu instid0(VALU_DEP_1) | instskip(NEXT) | instid1(VALU_DEP_1)
	v_fma_f64 v[48:49], v[48:49], v[50:51], v[48:49]
	v_fma_f64 v[50:51], -v[26:27], v[48:49], 1.0
	s_delay_alu instid0(VALU_DEP_1) | instskip(SKIP_1) | instid1(VALU_DEP_1)
	v_fma_f64 v[48:49], v[48:49], v[50:51], v[48:49]
	v_div_scale_f64 v[50:51], vcc_lo, v[0:1], v[10:11], v[0:1]
	v_mul_f64 v[52:53], v[50:51], v[48:49]
	s_delay_alu instid0(VALU_DEP_1) | instskip(NEXT) | instid1(VALU_DEP_1)
	v_fma_f64 v[26:27], -v[26:27], v[52:53], v[50:51]
	v_div_fmas_f64 v[26:27], v[26:27], v[48:49], v[52:53]
	s_delay_alu instid0(VALU_DEP_1) | instskip(SKIP_1) | instid1(VALU_DEP_1)
	v_div_fixup_f64 v[10:11], v[26:27], v[10:11], v[0:1]
	v_add_f64 v[26:27], v[4:5], 1.0
	v_div_scale_f64 v[48:49], null, v[26:27], v[26:27], v[4:5]
	s_delay_alu instid0(VALU_DEP_1) | instskip(SKIP_2) | instid1(VALU_DEP_1)
	v_rcp_f64_e32 v[50:51], v[48:49]
	s_waitcnt_depctr 0xfff
	v_fma_f64 v[52:53], -v[48:49], v[50:51], 1.0
	v_fma_f64 v[50:51], v[50:51], v[52:53], v[50:51]
	s_delay_alu instid0(VALU_DEP_1) | instskip(NEXT) | instid1(VALU_DEP_1)
	v_fma_f64 v[52:53], -v[48:49], v[50:51], 1.0
	v_fma_f64 v[50:51], v[50:51], v[52:53], v[50:51]
	v_div_scale_f64 v[52:53], vcc_lo, v[4:5], v[26:27], v[4:5]
	s_delay_alu instid0(VALU_DEP_1) | instskip(NEXT) | instid1(VALU_DEP_1)
	v_mul_f64 v[54:55], v[52:53], v[50:51]
	v_fma_f64 v[48:49], -v[48:49], v[54:55], v[52:53]
	s_delay_alu instid0(VALU_DEP_1) | instskip(NEXT) | instid1(VALU_DEP_1)
	v_div_fmas_f64 v[48:49], v[48:49], v[50:51], v[54:55]
	v_div_fixup_f64 v[26:27], v[48:49], v[26:27], v[4:5]
	v_add_f64 v[48:49], v[6:7], 1.0
	s_delay_alu instid0(VALU_DEP_1) | instskip(NEXT) | instid1(VALU_DEP_1)
	v_div_scale_f64 v[50:51], null, v[48:49], v[48:49], v[6:7]
	v_rcp_f64_e32 v[52:53], v[50:51]
	s_waitcnt_depctr 0xfff
	v_fma_f64 v[54:55], -v[50:51], v[52:53], 1.0
	s_delay_alu instid0(VALU_DEP_1) | instskip(NEXT) | instid1(VALU_DEP_1)
	v_fma_f64 v[52:53], v[52:53], v[54:55], v[52:53]
	v_fma_f64 v[54:55], -v[50:51], v[52:53], 1.0
	s_delay_alu instid0(VALU_DEP_1) | instskip(SKIP_1) | instid1(VALU_DEP_1)
	v_fma_f64 v[52:53], v[52:53], v[54:55], v[52:53]
	v_div_scale_f64 v[54:55], vcc_lo, v[6:7], v[48:49], v[6:7]
	v_mul_f64 v[113:114], v[54:55], v[52:53]
	s_delay_alu instid0(VALU_DEP_1) | instskip(NEXT) | instid1(VALU_DEP_1)
	v_fma_f64 v[50:51], -v[50:51], v[113:114], v[54:55]
	v_div_fmas_f64 v[50:51], v[50:51], v[52:53], v[113:114]
	s_delay_alu instid0(VALU_DEP_1) | instskip(SKIP_2) | instid1(VALU_DEP_3)
	v_div_fixup_f64 v[48:49], v[50:51], v[48:49], v[6:7]
	v_fma_f64 v[50:51], -v[34:35], v[10:11], v[14:15]
	v_fma_f64 v[34:35], -v[2:3], v[10:11], v[34:35]
	v_add_f64 v[52:53], v[48:49], -v[26:27]
	v_add_f64 v[54:55], v[48:49], -v[10:11]
	s_delay_alu instid0(VALU_DEP_3) | instskip(SKIP_2) | instid1(VALU_DEP_4)
	v_fma_f64 v[14:15], -v[26:27], v[34:35], v[50:51]
	v_add_f64 v[10:11], v[26:27], -v[10:11]
	v_fma_f64 v[34:35], v[48:49], v[34:35], -v[50:51]
	v_mul_f64 v[54:55], v[52:53], v[54:55]
	s_delay_alu instid0(VALU_DEP_3) | instskip(NEXT) | instid1(VALU_DEP_2)
	v_mul_f64 v[10:11], v[10:11], v[52:53]
	v_div_scale_f64 v[113:114], null, v[54:55], v[54:55], v[14:15]
	s_delay_alu instid0(VALU_DEP_2) | instskip(NEXT) | instid1(VALU_DEP_2)
	v_div_scale_f64 v[26:27], null, v[10:11], v[10:11], v[34:35]
	v_rcp_f64_e32 v[115:116], v[113:114]
	s_delay_alu instid0(VALU_DEP_1) | instskip(SKIP_3) | instid1(VALU_DEP_2)
	v_rcp_f64_e32 v[48:49], v[26:27]
	s_waitcnt_depctr 0xfff
	v_fma_f64 v[117:118], -v[113:114], v[115:116], 1.0
	v_fma_f64 v[50:51], -v[26:27], v[48:49], 1.0
	v_fma_f64 v[115:116], v[115:116], v[117:118], v[115:116]
	s_delay_alu instid0(VALU_DEP_2) | instskip(NEXT) | instid1(VALU_DEP_2)
	v_fma_f64 v[48:49], v[48:49], v[50:51], v[48:49]
	v_fma_f64 v[117:118], -v[113:114], v[115:116], 1.0
	s_delay_alu instid0(VALU_DEP_2) | instskip(NEXT) | instid1(VALU_DEP_2)
	v_fma_f64 v[50:51], -v[26:27], v[48:49], 1.0
	v_fma_f64 v[115:116], v[115:116], v[117:118], v[115:116]
	v_div_scale_f64 v[117:118], vcc_lo, v[14:15], v[54:55], v[14:15]
	s_delay_alu instid0(VALU_DEP_3) | instskip(NEXT) | instid1(VALU_DEP_2)
	v_fma_f64 v[48:49], v[48:49], v[50:51], v[48:49]
	v_mul_f64 v[128:129], v[117:118], v[115:116]
	s_delay_alu instid0(VALU_DEP_1) | instskip(NEXT) | instid1(VALU_DEP_1)
	v_fma_f64 v[113:114], -v[113:114], v[128:129], v[117:118]
	v_div_fmas_f64 v[113:114], v[113:114], v[115:116], v[128:129]
	v_div_scale_f64 v[50:51], vcc_lo, v[34:35], v[10:11], v[34:35]
	s_delay_alu instid0(VALU_DEP_2) | instskip(NEXT) | instid1(VALU_DEP_2)
	v_div_fixup_f64 v[14:15], v[113:114], v[54:55], v[14:15]
	v_mul_f64 v[52:53], v[50:51], v[48:49]
	s_delay_alu instid0(VALU_DEP_1) | instskip(NEXT) | instid1(VALU_DEP_1)
	v_fma_f64 v[26:27], -v[26:27], v[52:53], v[50:51]
	v_div_fmas_f64 v[26:27], v[26:27], v[48:49], v[52:53]
	s_delay_alu instid0(VALU_DEP_1) | instskip(NEXT) | instid1(VALU_DEP_1)
	v_div_fixup_f64 v[26:27], v[26:27], v[10:11], v[34:35]
	v_add_f64 v[2:3], v[2:3], -v[26:27]
	s_delay_alu instid0(VALU_DEP_1)
	v_add_f64 v[2:3], v[2:3], -v[14:15]
.LBB0_120:
	s_or_b32 exec_lo, exec_lo, s1
                                        ; implicit-def: $vgpr10_vgpr11
                                        ; implicit-def: $vgpr48_vgpr49
                                        ; implicit-def: $vgpr34_vgpr35
.LBB0_121:
	s_and_not1_saveexec_b32 s6, s0
	s_cbranch_execz .LBB0_123
; %bb.122:
	s_mov_b32 s0, 0x98a19a3b
	s_mov_b32 s1, 0xc047c97f
	;; [unrolled: 1-line block ×3, first 2 shown]
	v_div_scale_f64 v[0:1], null, v[10:11], v[10:11], s[0:1]
	v_div_scale_f64 v[14:15], vcc_lo, s[0:1], v[10:11], s[0:1]
	s_mov_b32 s2, 0xafdb7b47
	s_mov_b32 s8, 0x91cc54ee
	;; [unrolled: 1-line block ×4, first 2 shown]
	v_div_scale_f64 v[26:27], null, v[10:11], v[10:11], s[8:9]
	s_mov_b32 s19, 0xbeb34731
	s_mov_b32 s20, 0x5eeb529d
	;; [unrolled: 1-line block ×5, first 2 shown]
	s_delay_alu instid0(VALU_DEP_3) | instskip(NEXT) | instid1(VALU_DEP_1)
	v_rcp_f64_e32 v[4:5], v[0:1]
	v_rcp_f64_e32 v[54:55], v[26:27]
	s_waitcnt_depctr 0xfff
	v_fma_f64 v[6:7], -v[0:1], v[4:5], 1.0
	v_fma_f64 v[117:118], -v[26:27], v[54:55], 1.0
	s_delay_alu instid0(VALU_DEP_2) | instskip(NEXT) | instid1(VALU_DEP_2)
	v_fma_f64 v[4:5], v[4:5], v[6:7], v[4:5]
	v_fma_f64 v[54:55], v[54:55], v[117:118], v[54:55]
	s_delay_alu instid0(VALU_DEP_2) | instskip(NEXT) | instid1(VALU_DEP_2)
	v_fma_f64 v[6:7], -v[0:1], v[4:5], 1.0
	v_fma_f64 v[117:118], -v[26:27], v[54:55], 1.0
	s_delay_alu instid0(VALU_DEP_2) | instskip(NEXT) | instid1(VALU_DEP_2)
	v_fma_f64 v[4:5], v[4:5], v[6:7], v[4:5]
	v_fma_f64 v[54:55], v[54:55], v[117:118], v[54:55]
	s_delay_alu instid0(VALU_DEP_2) | instskip(NEXT) | instid1(VALU_DEP_1)
	v_mul_f64 v[6:7], v[14:15], v[4:5]
	v_fma_f64 v[0:1], -v[0:1], v[6:7], v[14:15]
	s_delay_alu instid0(VALU_DEP_1) | instskip(SKIP_2) | instid1(VALU_DEP_2)
	v_div_fmas_f64 v[0:1], v[0:1], v[4:5], v[6:7]
	v_add_f64 v[4:5], v[10:11], s[2:3]
	s_mov_b32 s3, 0x3fd19dc7
	v_div_fixup_f64 v[0:1], v[0:1], v[10:11], s[0:1]
	s_mov_b32 s0, 0xeb08f581
	s_mov_b32 s1, 0x40226b8b
	s_delay_alu instid0(VALU_DEP_2) | instskip(NEXT) | instid1(VALU_DEP_2)
	v_div_scale_f64 v[14:15], null, v[4:5], v[4:5], s[2:3]
	v_add_f64 v[0:1], v[0:1], s[0:1]
	s_delay_alu instid0(VALU_DEP_2) | instskip(NEXT) | instid1(VALU_DEP_1)
	v_rcp_f64_e32 v[52:53], v[14:15]
	v_div_scale_f64 v[6:7], null, v[10:11], v[10:11], v[0:1]
	v_div_scale_f64 v[128:129], vcc_lo, v[0:1], v[10:11], v[0:1]
	s_waitcnt_depctr 0xfff
	v_fma_f64 v[115:116], -v[14:15], v[52:53], 1.0
	v_rcp_f64_e32 v[50:51], v[6:7]
	s_delay_alu instid0(VALU_DEP_1) | instskip(SKIP_3) | instid1(VALU_DEP_2)
	v_fma_f64 v[52:53], v[52:53], v[115:116], v[52:53]
	s_waitcnt_depctr 0xfff
	v_fma_f64 v[113:114], -v[6:7], v[50:51], 1.0
	v_fma_f64 v[115:116], -v[14:15], v[52:53], 1.0
	v_fma_f64 v[50:51], v[50:51], v[113:114], v[50:51]
	s_delay_alu instid0(VALU_DEP_2) | instskip(SKIP_1) | instid1(VALU_DEP_3)
	v_fma_f64 v[52:53], v[52:53], v[115:116], v[52:53]
	v_div_scale_f64 v[115:116], s1, s[8:9], v[10:11], s[8:9]
	v_fma_f64 v[113:114], -v[6:7], v[50:51], 1.0
	s_delay_alu instid0(VALU_DEP_2) | instskip(NEXT) | instid1(VALU_DEP_2)
	v_mul_f64 v[132:133], v[115:116], v[54:55]
	v_fma_f64 v[50:51], v[50:51], v[113:114], v[50:51]
	v_div_scale_f64 v[113:114], s0, s[2:3], v[4:5], s[2:3]
	s_delay_alu instid0(VALU_DEP_3) | instskip(NEXT) | instid1(VALU_DEP_3)
	v_fma_f64 v[26:27], -v[26:27], v[132:133], v[115:116]
	v_mul_f64 v[117:118], v[128:129], v[50:51]
	s_delay_alu instid0(VALU_DEP_3) | instskip(NEXT) | instid1(VALU_DEP_2)
	v_mul_f64 v[130:131], v[113:114], v[52:53]
	v_fma_f64 v[6:7], -v[6:7], v[117:118], v[128:129]
	s_delay_alu instid0(VALU_DEP_2) | instskip(NEXT) | instid1(VALU_DEP_2)
	v_fma_f64 v[14:15], -v[14:15], v[130:131], v[113:114]
	v_div_fmas_f64 v[6:7], v[6:7], v[50:51], v[117:118]
	s_mov_b32 vcc_lo, s0
	s_delay_alu instid0(VALU_DEP_2) | instskip(SKIP_4) | instid1(VALU_DEP_3)
	v_div_fmas_f64 v[14:15], v[14:15], v[52:53], v[130:131]
	s_mov_b32 vcc_lo, s1
	s_mov_b32 s0, 0x66acbf03
	v_div_fmas_f64 v[26:27], v[26:27], v[54:55], v[132:133]
	s_mov_b32 s1, 0xc055ac1b
	v_div_fixup_f64 v[0:1], v[6:7], v[10:11], v[0:1]
	s_delay_alu instid0(VALU_DEP_3) | instskip(SKIP_1) | instid1(VALU_DEP_4)
	v_div_fixup_f64 v[4:5], v[14:15], v[4:5], s[2:3]
	v_add_f64 v[14:15], v[34:35], -v[2:3]
	v_div_fixup_f64 v[26:27], v[26:27], v[10:11], s[8:9]
	s_mov_b32 s9, 0xc005cc47
	s_mov_b32 s8, 0xa049083
	s_delay_alu instid0(SALU_CYCLE_1) | instskip(SKIP_1) | instid1(VALU_DEP_2)
	v_add_f64 v[52:53], v[10:11], s[8:9]
	s_mov_b32 s9, 0x4005cc47
	v_add_f64 v[26:27], v[26:27], s[0:1]
	s_mov_b32 s0, 0xc7014c2f
	s_mov_b32 s1, 0x3f2711b1
	s_delay_alu instid0(VALU_DEP_2) | instskip(SKIP_4) | instid1(VALU_DEP_4)
	v_div_scale_f64 v[113:114], null, v[52:53], v[52:53], s[8:9]
	v_fma_f64 v[132:133], v[10:11], s[18:19], s[0:1]
	v_div_scale_f64 v[134:135], s0, s[8:9], v[52:53], s[8:9]
	s_mov_b32 s18, 0x3ecbb5b5
	s_mov_b32 s19, 0xbf919c75
	v_div_scale_f64 v[50:51], null, v[10:11], v[10:11], v[26:27]
	s_delay_alu instid0(VALU_DEP_4) | instskip(NEXT) | instid1(VALU_DEP_1)
	v_rcp_f64_e32 v[117:118], v[113:114]
	v_rcp_f64_e32 v[54:55], v[50:51]
	s_waitcnt_depctr 0xfff
	v_fma_f64 v[115:116], -v[50:51], v[54:55], 1.0
	s_delay_alu instid0(VALU_DEP_1) | instskip(SKIP_1) | instid1(VALU_DEP_2)
	v_fma_f64 v[54:55], v[54:55], v[115:116], v[54:55]
	v_fma_f64 v[115:116], -v[113:114], v[117:118], 1.0
	v_fma_f64 v[128:129], -v[50:51], v[54:55], 1.0
	s_delay_alu instid0(VALU_DEP_2) | instskip(SKIP_1) | instid1(VALU_DEP_3)
	v_fma_f64 v[115:116], v[117:118], v[115:116], v[117:118]
	v_div_scale_f64 v[117:118], vcc_lo, v[26:27], v[10:11], v[26:27]
	v_fma_f64 v[54:55], v[54:55], v[128:129], v[54:55]
	s_delay_alu instid0(VALU_DEP_3) | instskip(NEXT) | instid1(VALU_DEP_2)
	v_fma_f64 v[128:129], -v[113:114], v[115:116], 1.0
	v_mul_f64 v[130:131], v[117:118], v[54:55]
	s_delay_alu instid0(VALU_DEP_2) | instskip(SKIP_4) | instid1(VALU_DEP_3)
	v_fma_f64 v[115:116], v[115:116], v[128:129], v[115:116]
	v_fma_f64 v[128:129], v[10:11], s[22:23], s[20:21]
	s_mov_b32 s20, 0xef27b1df
	s_mov_b32 s21, 0xc0101d8d
	s_mov_b64 s[22:23], s[40:41]
	v_fma_f64 v[50:51], -v[50:51], v[130:131], v[117:118]
	v_fma_f64 v[117:118], v[10:11], v[132:133], s[18:19]
	s_delay_alu instid0(VALU_DEP_4) | instskip(SKIP_2) | instid1(VALU_DEP_4)
	v_mul_f64 v[132:133], v[134:135], v[115:116]
	s_mov_b32 s18, 0x2c4d6e04
	s_mov_b32 s19, 0xbfc192ce
	v_fma_f64 v[6:7], v[10:11], v[128:129], s[20:21]
	s_delay_alu instid0(VALU_DEP_4) | instskip(NEXT) | instid1(VALU_DEP_4)
	v_div_fmas_f64 v[50:51], v[50:51], v[54:55], v[130:131]
	v_fma_f64 v[54:55], v[10:11], v[117:118], s[18:19]
	s_delay_alu instid0(VALU_DEP_4)
	v_fma_f64 v[113:114], -v[113:114], v[132:133], v[134:135]
	s_mov_b32 vcc_lo, s0
	s_mov_b32 s0, 0x7e7368c2
	s_mov_b32 s18, 0x5e33dc4b
	;; [unrolled: 1-line block ×4, first 2 shown]
	s_delay_alu instid0(VALU_DEP_3) | instskip(NEXT) | instid1(VALU_DEP_3)
	v_div_fixup_f64 v[26:27], v[50:51], v[10:11], v[26:27]
	v_fma_f64 v[0:1], v[10:11], v[54:55], v[0:1]
	s_delay_alu instid0(VALU_DEP_3) | instskip(NEXT) | instid1(VALU_DEP_3)
	v_div_fmas_f64 v[50:51], v[113:114], v[115:116], v[132:133]
	v_fma_f64 v[6:7], v[10:11], v[6:7], v[26:27]
	s_delay_alu instid0(VALU_DEP_3) | instskip(NEXT) | instid1(VALU_DEP_3)
	v_add_f64 v[0:1], v[0:1], s[0:1]
	v_div_fixup_f64 v[10:11], v[50:51], v[52:53], s[8:9]
	s_delay_alu instid0(VALU_DEP_3) | instskip(NEXT) | instid1(VALU_DEP_3)
	v_add_f64 v[6:7], v[6:7], s[18:19]
	v_fma_f64 v[0:1], v[0:1], v[48:49], v[4:5]
	s_delay_alu instid0(VALU_DEP_2) | instskip(NEXT) | instid1(VALU_DEP_2)
	v_fma_f64 v[4:5], v[6:7], v[48:49], v[10:11]
	v_fma_f64 v[6:7], v[0:1], v[14:15], v[34:35]
	s_delay_alu instid0(VALU_DEP_2) | instskip(SKIP_1) | instid1(VALU_DEP_2)
	v_add_f64 v[10:11], v[4:5], 1.0
	v_add_f64 v[14:15], v[4:5], -v[0:1]
	v_mul_f64 v[6:7], v[10:11], v[6:7]
	s_delay_alu instid0(VALU_DEP_1) | instskip(NEXT) | instid1(VALU_DEP_1)
	v_div_scale_f64 v[10:11], null, v[14:15], v[14:15], v[6:7]
	v_rcp_f64_e32 v[26:27], v[10:11]
	s_waitcnt_depctr 0xfff
	v_fma_f64 v[34:35], -v[10:11], v[26:27], 1.0
	s_delay_alu instid0(VALU_DEP_1) | instskip(NEXT) | instid1(VALU_DEP_1)
	v_fma_f64 v[26:27], v[26:27], v[34:35], v[26:27]
	v_fma_f64 v[34:35], -v[10:11], v[26:27], 1.0
	s_delay_alu instid0(VALU_DEP_1) | instskip(SKIP_1) | instid1(VALU_DEP_1)
	v_fma_f64 v[26:27], v[26:27], v[34:35], v[26:27]
	v_div_scale_f64 v[34:35], vcc_lo, v[6:7], v[14:15], v[6:7]
	v_mul_f64 v[48:49], v[34:35], v[26:27]
	s_delay_alu instid0(VALU_DEP_1) | instskip(NEXT) | instid1(VALU_DEP_1)
	v_fma_f64 v[10:11], -v[10:11], v[48:49], v[34:35]
	v_div_fmas_f64 v[10:11], v[10:11], v[26:27], v[48:49]
	s_delay_alu instid0(VALU_DEP_1) | instskip(SKIP_2) | instid1(VALU_DEP_1)
	v_div_fixup_f64 v[26:27], v[10:11], v[14:15], v[6:7]
	v_mov_b32_e32 v14, 0
	v_mov_b32_e32 v15, 0
	v_dual_mov_b32 v6, v14 :: v_dual_mov_b32 v7, v15
	s_delay_alu instid0(VALU_DEP_4)
	v_add_f64 v[2:3], v[2:3], -v[26:27]
.LBB0_123:
	s_or_b32 exec_lo, exec_lo, s6
                                        ; implicit-def: $vgpr34_vgpr35
.LBB0_124:
	s_and_not1_saveexec_b32 s0, s5
	s_cbranch_execz .LBB0_128
; %bb.125:
	v_mov_b32_e32 v14, 0
	v_mov_b32_e32 v15, 0
	s_delay_alu instid0(VALU_DEP_2) | instskip(SKIP_1) | instid1(VALU_DEP_2)
	v_mov_b32_e32 v0, v14
	s_mov_b32 s1, exec_lo
	v_mov_b32_e32 v1, v15
	v_cmpx_eq_u32_e32 0, v107
	s_cbranch_execz .LBB0_127
; %bb.126:
	v_add_f64 v[0:1], v[2:3], -v[34:35]
	s_delay_alu instid0(VALU_DEP_1) | instskip(NEXT) | instid1(VALU_DEP_1)
	v_div_scale_f64 v[4:5], null, v[0:1], v[0:1], v[34:35]
	v_rcp_f64_e32 v[6:7], v[4:5]
	s_waitcnt_depctr 0xfff
	v_fma_f64 v[10:11], -v[4:5], v[6:7], 1.0
	s_delay_alu instid0(VALU_DEP_1) | instskip(NEXT) | instid1(VALU_DEP_1)
	v_fma_f64 v[6:7], v[6:7], v[10:11], v[6:7]
	v_fma_f64 v[10:11], -v[4:5], v[6:7], 1.0
	s_delay_alu instid0(VALU_DEP_1) | instskip(SKIP_1) | instid1(VALU_DEP_1)
	v_fma_f64 v[6:7], v[6:7], v[10:11], v[6:7]
	v_div_scale_f64 v[10:11], vcc_lo, v[34:35], v[0:1], v[34:35]
	v_mul_f64 v[26:27], v[10:11], v[6:7]
	s_delay_alu instid0(VALU_DEP_1) | instskip(NEXT) | instid1(VALU_DEP_1)
	v_fma_f64 v[4:5], -v[4:5], v[26:27], v[10:11]
	v_div_fmas_f64 v[4:5], v[4:5], v[6:7], v[26:27]
	s_delay_alu instid0(VALU_DEP_1)
	v_div_fixup_f64 v[0:1], v[4:5], v[0:1], v[34:35]
.LBB0_127:
	s_or_b32 exec_lo, exec_lo, s1
	v_dual_mov_b32 v27, v15 :: v_dual_mov_b32 v26, v14
	v_dual_mov_b32 v6, v14 :: v_dual_mov_b32 v7, v15
	;; [unrolled: 1-line block ×3, first 2 shown]
.LBB0_128:
	s_or_b32 exec_lo, exec_lo, s0
.LBB0_129:
	s_delay_alu instid0(SALU_CYCLE_1)
	s_or_b32 exec_lo, exec_lo, s4
                                        ; implicit-def: $vgpr10_vgpr11
.LBB0_130:
	s_and_not1_saveexec_b32 s4, s16
	s_cbranch_execz .LBB0_144
; %bb.131:
	s_mov_b32 s0, 0xb621ca13
	s_mov_b32 s1, 0xbfc80b5d
	s_mov_b32 s2, 0x54442d15
	v_div_scale_f64 v[0:1], null, v[10:11], v[10:11], s[0:1]
	v_div_scale_f64 v[6:7], vcc_lo, s[0:1], v[10:11], s[0:1]
	s_mov_b32 s3, 0x3fe921fb
	s_mov_b32 s6, 0xfefa39ef
	;; [unrolled: 1-line block ×3, first 2 shown]
	s_delay_alu instid0(VALU_DEP_2) | instskip(SKIP_2) | instid1(VALU_DEP_1)
	v_rcp_f64_e32 v[2:3], v[0:1]
	s_waitcnt_depctr 0xfff
	v_fma_f64 v[4:5], -v[0:1], v[2:3], 1.0
	v_fma_f64 v[2:3], v[2:3], v[4:5], v[2:3]
	s_delay_alu instid0(VALU_DEP_1) | instskip(NEXT) | instid1(VALU_DEP_1)
	v_fma_f64 v[4:5], -v[0:1], v[2:3], 1.0
	v_fma_f64 v[2:3], v[2:3], v[4:5], v[2:3]
	s_delay_alu instid0(VALU_DEP_1) | instskip(NEXT) | instid1(VALU_DEP_1)
	v_mul_f64 v[4:5], v[6:7], v[2:3]
	v_fma_f64 v[0:1], -v[0:1], v[4:5], v[6:7]
	s_delay_alu instid0(VALU_DEP_1) | instskip(NEXT) | instid1(VALU_DEP_1)
	v_div_fmas_f64 v[0:1], v[0:1], v[2:3], v[4:5]
	v_div_fixup_f64 v[0:1], v[0:1], v[10:11], s[0:1]
	s_mov_b32 s0, 0x1930dd58
	s_mov_b32 s1, 0x3fcd6df8
	s_delay_alu instid0(VALU_DEP_1) | instid1(SALU_CYCLE_1)
	v_add_f64 v[0:1], v[0:1], s[0:1]
	s_mov_b32 s0, 0xa84e6e89
	s_mov_b32 s1, 0xbfdfee97
	s_delay_alu instid0(VALU_DEP_1) | instskip(SKIP_1) | instid1(VALU_DEP_2)
	v_div_scale_f64 v[2:3], null, v[10:11], v[10:11], v[0:1]
	v_div_scale_f64 v[14:15], vcc_lo, v[0:1], v[10:11], v[0:1]
	v_rcp_f64_e32 v[4:5], v[2:3]
	s_waitcnt_depctr 0xfff
	v_fma_f64 v[6:7], -v[2:3], v[4:5], 1.0
	s_delay_alu instid0(VALU_DEP_1) | instskip(NEXT) | instid1(VALU_DEP_1)
	v_fma_f64 v[4:5], v[4:5], v[6:7], v[4:5]
	v_fma_f64 v[6:7], -v[2:3], v[4:5], 1.0
	s_delay_alu instid0(VALU_DEP_1) | instskip(NEXT) | instid1(VALU_DEP_1)
	v_fma_f64 v[4:5], v[4:5], v[6:7], v[4:5]
	v_mul_f64 v[6:7], v[14:15], v[4:5]
	s_delay_alu instid0(VALU_DEP_1) | instskip(NEXT) | instid1(VALU_DEP_1)
	v_fma_f64 v[2:3], -v[2:3], v[6:7], v[14:15]
	v_div_fmas_f64 v[2:3], v[2:3], v[4:5], v[6:7]
	v_div_scale_f64 v[4:5], null, v[10:11], v[10:11], s[2:3]
	s_delay_alu instid0(VALU_DEP_2) | instskip(NEXT) | instid1(VALU_DEP_2)
	v_div_fixup_f64 v[0:1], v[2:3], v[10:11], v[0:1]
	v_rcp_f64_e32 v[14:15], v[4:5]
	s_delay_alu instid0(VALU_DEP_1)
	v_add_f64 v[0:1], v[0:1], s[0:1]
	s_mov_b32 s0, 0x652b82fe
	s_mov_b32 s1, 0xbff71547
	s_waitcnt_depctr 0xfff
	v_fma_f64 v[34:35], -v[4:5], v[14:15], 1.0
	v_mul_f64 v[48:49], v[10:11], s[0:1]
	v_div_scale_f64 v[2:3], null, v[10:11], v[10:11], v[0:1]
	v_div_scale_f64 v[50:51], vcc_lo, v[0:1], v[10:11], v[0:1]
	s_delay_alu instid0(VALU_DEP_4) | instskip(NEXT) | instid1(VALU_DEP_3)
	v_fma_f64 v[14:15], v[14:15], v[34:35], v[14:15]
	v_rcp_f64_e32 v[6:7], v[2:3]
	s_delay_alu instid0(VALU_DEP_1) | instskip(SKIP_4) | instid1(VALU_DEP_3)
	v_fma_f64 v[34:35], -v[4:5], v[14:15], 1.0
	s_waitcnt_depctr 0xfff
	v_fma_f64 v[26:27], -v[2:3], v[6:7], 1.0
	v_fma_f64 v[14:15], v[14:15], v[34:35], v[14:15]
	v_rndne_f64_e32 v[34:35], v[48:49]
	v_fma_f64 v[6:7], v[6:7], v[26:27], v[6:7]
	s_delay_alu instid0(VALU_DEP_2) | instskip(SKIP_2) | instid1(VALU_DEP_2)
	v_fma_f64 v[54:55], v[34:35], s[6:7], -v[10:11]
	s_mov_b32 s6, 0x3b39803f
	s_mov_b32 s7, 0xbc7abc9e
	v_fma_f64 v[26:27], -v[2:3], v[6:7], 1.0
	s_delay_alu instid0(VALU_DEP_1) | instskip(SKIP_1) | instid1(VALU_DEP_2)
	v_fma_f64 v[6:7], v[6:7], v[26:27], v[6:7]
	v_div_scale_f64 v[26:27], s0, s[2:3], v[10:11], s[2:3]
	v_mul_f64 v[48:49], v[50:51], v[6:7]
	s_delay_alu instid0(VALU_DEP_2) | instskip(NEXT) | instid1(VALU_DEP_2)
	v_mul_f64 v[52:53], v[26:27], v[14:15]
	v_fma_f64 v[2:3], -v[2:3], v[48:49], v[50:51]
	s_delay_alu instid0(VALU_DEP_2) | instskip(SKIP_4) | instid1(VALU_DEP_4)
	v_fma_f64 v[4:5], -v[4:5], v[52:53], v[26:27]
	v_fma_f64 v[26:27], v[34:35], s[6:7], v[54:55]
	s_mov_b32 s6, 0x6a5dcb37
	s_mov_b32 s7, 0x3e5ade15
	v_cvt_i32_f64_e32 v34, v[34:35]
	v_div_fmas_f64 v[2:3], v[2:3], v[6:7], v[48:49]
	s_mov_b32 vcc_lo, s0
	s_mov_b32 s0, 0xfca7ab0c
	s_mov_b32 s1, 0x3e928af3
	s_delay_alu instid0(VALU_DEP_4) | instskip(NEXT) | instid1(VALU_DEP_4)
	v_div_fmas_f64 v[4:5], v[4:5], v[14:15], v[52:53]
	v_fma_f64 v[6:7], v[26:27], s[6:7], s[0:1]
	s_mov_b32 s0, 0x623fde64
	s_mov_b32 s1, 0x3ec71dee
	s_delay_alu instid0(VALU_DEP_3) | instskip(NEXT) | instid1(VALU_DEP_3)
	v_div_fixup_f64 v[0:1], v[2:3], v[10:11], v[0:1]
	v_div_fixup_f64 v[4:5], v[4:5], v[10:11], s[2:3]
	s_delay_alu instid0(VALU_DEP_3)
	v_fma_f64 v[6:7], v[26:27], v[6:7], s[0:1]
	s_mov_b32 s0, 0x7c89e6b0
	s_mov_b32 s1, 0x3efa0199
	;; [unrolled: 1-line block ×4, first 2 shown]
	s_delay_alu instid0(VALU_DEP_3) | instid1(SALU_CYCLE_1)
	v_add_f64 v[0:1], v[0:1], s[2:3]
	s_delay_alu instid0(VALU_DEP_3) | instskip(NEXT) | instid1(VALU_DEP_3)
	v_cmp_gt_f64_e32 vcc_lo, 0x10000000, v[4:5]
	v_fma_f64 v[6:7], v[26:27], v[6:7], s[0:1]
	s_mov_b32 s0, 0x14761f6e
	s_mov_b32 s1, 0x3f2a01a0
	v_cndmask_b32_e64 v14, 0, 1, vcc_lo
	s_delay_alu instid0(VALU_DEP_2)
	v_fma_f64 v[6:7], v[26:27], v[6:7], s[0:1]
	s_mov_b32 s0, 0x1852b7b0
	s_mov_b32 s1, 0x3f56c16c
	s_delay_alu instid0(VALU_DEP_1) | instid1(SALU_CYCLE_1)
	v_fma_f64 v[6:7], v[26:27], v[6:7], s[0:1]
	s_mov_b32 s0, 0x11122322
	s_mov_b32 s1, 0x3f811111
	s_delay_alu instid0(VALU_DEP_1) | instid1(SALU_CYCLE_1)
	;; [unrolled: 4-line block ×5, first 2 shown]
	v_fma_f64 v[6:7], v[26:27], v[6:7], s[0:1]
	s_delay_alu instid0(VALU_DEP_1) | instskip(NEXT) | instid1(VALU_DEP_1)
	v_fma_f64 v[6:7], v[26:27], v[6:7], 1.0
	v_fma_f64 v[6:7], v[26:27], v[6:7], 1.0
	v_cndmask_b32_e64 v26, 0, 0xffffff80, vcc_lo
	v_cmp_nlt_f64_e32 vcc_lo, 0x4090cc00, v[10:11]
	s_delay_alu instid0(VALU_DEP_3) | instskip(SKIP_1) | instid1(VALU_DEP_1)
	v_ldexp_f64 v[2:3], v[6:7], v34
	v_lshlrev_b32_e32 v14, 8, v14
	v_ldexp_f64 v[4:5], v[4:5], v14
	s_delay_alu instid0(VALU_DEP_1) | instskip(SKIP_4) | instid1(VALU_DEP_1)
	v_rsq_f64_e32 v[14:15], v[4:5]
	v_cmp_class_f64_e64 s0, v[4:5], 0x260
	s_waitcnt_depctr 0xfff
	v_mul_f64 v[48:49], v[4:5], v[14:15]
	v_mul_f64 v[14:15], v[14:15], 0.5
	v_fma_f64 v[50:51], -v[14:15], v[48:49], 0.5
	s_delay_alu instid0(VALU_DEP_1) | instskip(SKIP_1) | instid1(VALU_DEP_2)
	v_fma_f64 v[48:49], v[48:49], v[50:51], v[48:49]
	v_fma_f64 v[14:15], v[14:15], v[50:51], v[14:15]
	v_fma_f64 v[50:51], -v[48:49], v[48:49], v[4:5]
	s_delay_alu instid0(VALU_DEP_1) | instskip(NEXT) | instid1(VALU_DEP_1)
	v_fma_f64 v[48:49], v[50:51], v[14:15], v[48:49]
	v_fma_f64 v[50:51], -v[48:49], v[48:49], v[4:5]
	s_delay_alu instid0(VALU_DEP_1) | instskip(SKIP_2) | instid1(VALU_DEP_3)
	v_fma_f64 v[14:15], v[50:51], v[14:15], v[48:49]
	v_dual_cndmask_b32 v49, 0, v3 :: v_dual_cndmask_b32 v48, 0, v2
	v_add_f64 v[50:51], v[10:11], v[10:11]
	v_ldexp_f64 v[6:7], v[14:15], v26
	s_delay_alu instid0(VALU_DEP_1) | instskip(NEXT) | instid1(VALU_DEP_2)
	v_cndmask_b32_e64 v3, v7, v5, s0
	v_cndmask_b32_e64 v2, v6, v4, s0
	s_mov_b32 s0, exec_lo
	s_delay_alu instid0(VALU_DEP_1) | instskip(NEXT) | instid1(VALU_DEP_1)
	v_fma_f64 v[2:3], v[0:1], v[48:49], v[2:3]
	v_add_f64 v[0:1], v[2:3], -v[48:49]
	s_delay_alu instid0(VALU_DEP_1) | instskip(NEXT) | instid1(VALU_DEP_1)
	v_div_scale_f64 v[4:5], null, v[50:51], v[50:51], v[0:1]
	v_rcp_f64_e32 v[6:7], v[4:5]
	s_waitcnt_depctr 0xfff
	v_fma_f64 v[14:15], -v[4:5], v[6:7], 1.0
	s_delay_alu instid0(VALU_DEP_1) | instskip(NEXT) | instid1(VALU_DEP_1)
	v_fma_f64 v[6:7], v[6:7], v[14:15], v[6:7]
	v_fma_f64 v[14:15], -v[4:5], v[6:7], 1.0
	s_delay_alu instid0(VALU_DEP_1) | instskip(SKIP_1) | instid1(VALU_DEP_1)
	v_fma_f64 v[6:7], v[6:7], v[14:15], v[6:7]
	v_div_scale_f64 v[14:15], vcc_lo, v[0:1], v[50:51], v[0:1]
	v_mul_f64 v[26:27], v[14:15], v[6:7]
	s_delay_alu instid0(VALU_DEP_1) | instskip(NEXT) | instid1(VALU_DEP_1)
	v_fma_f64 v[4:5], -v[4:5], v[26:27], v[14:15]
                                        ; implicit-def: $vgpr14_vgpr15
	v_div_fmas_f64 v[4:5], v[4:5], v[6:7], v[26:27]
                                        ; implicit-def: $vgpr26_vgpr27
                                        ; implicit-def: $vgpr6_vgpr7
	s_delay_alu instid0(VALU_DEP_1)
	v_div_fixup_f64 v[34:35], v[4:5], v[50:51], v[0:1]
                                        ; implicit-def: $vgpr4_vgpr5
                                        ; implicit-def: $vgpr0_vgpr1
	v_cmpx_lt_i32_e32 0, v107
	s_xor_b32 s5, exec_lo, s0
	s_cbranch_execz .LBB0_139
; %bb.132:
	s_mov_b32 s0, exec_lo
                                        ; implicit-def: $vgpr14_vgpr15
                                        ; implicit-def: $vgpr26_vgpr27
                                        ; implicit-def: $vgpr6_vgpr7
                                        ; implicit-def: $vgpr4_vgpr5
                                        ; implicit-def: $vgpr0_vgpr1
	v_cmpx_lt_i32_e32 1, v107
	s_xor_b32 s0, exec_lo, s0
	s_cbranch_execz .LBB0_136
; %bb.133:
	v_mov_b32_e32 v14, 0
	v_mov_b32_e32 v15, 0
	s_delay_alu instid0(VALU_DEP_2)
	v_mov_b32_e32 v6, v14
	v_mov_b32_e32 v4, v14
	;; [unrolled: 1-line block ×3, first 2 shown]
	s_mov_b32 s1, exec_lo
	v_mov_b32_e32 v1, v15
	v_dual_mov_b32 v27, v15 :: v_dual_mov_b32 v26, v14
	v_mov_b32_e32 v7, v15
	v_mov_b32_e32 v5, v15
	v_cmpx_eq_u32_e32 2, v107
	s_cbranch_execz .LBB0_135
; %bb.134:
	v_fma_f64 v[0:1], v[34:35], 2.0, v[34:35]
	s_mov_b32 s2, 0x94ee36f9
	s_mov_b32 s6, 0x10f47019
	;; [unrolled: 1-line block ×4, first 2 shown]
	s_delay_alu instid0(VALU_DEP_1) | instskip(NEXT) | instid1(VALU_DEP_1)
	v_add_f64 v[0:1], v[0:1], -v[48:49]
	v_div_scale_f64 v[4:5], null, v[50:51], v[50:51], v[0:1]
	s_delay_alu instid0(VALU_DEP_1) | instskip(SKIP_2) | instid1(VALU_DEP_1)
	v_rcp_f64_e32 v[6:7], v[4:5]
	s_waitcnt_depctr 0xfff
	v_fma_f64 v[14:15], -v[4:5], v[6:7], 1.0
	v_fma_f64 v[6:7], v[6:7], v[14:15], v[6:7]
	s_delay_alu instid0(VALU_DEP_1) | instskip(NEXT) | instid1(VALU_DEP_1)
	v_fma_f64 v[14:15], -v[4:5], v[6:7], 1.0
	v_fma_f64 v[6:7], v[6:7], v[14:15], v[6:7]
	v_div_scale_f64 v[14:15], vcc_lo, v[0:1], v[50:51], v[0:1]
	s_delay_alu instid0(VALU_DEP_1) | instskip(NEXT) | instid1(VALU_DEP_1)
	v_mul_f64 v[26:27], v[14:15], v[6:7]
	v_fma_f64 v[4:5], -v[4:5], v[26:27], v[14:15]
	s_delay_alu instid0(VALU_DEP_1) | instskip(SKIP_1) | instid1(VALU_DEP_2)
	v_div_fmas_f64 v[4:5], v[4:5], v[6:7], v[26:27]
	v_add_f64 v[6:7], 0xc0290000, v[10:11]
	v_div_fixup_f64 v[14:15], v[4:5], v[50:51], v[0:1]
	s_delay_alu instid0(VALU_DEP_2) | instskip(SKIP_4) | instid1(VALU_DEP_1)
	v_fma_f64 v[0:1], v[6:7], s[6:7], s[2:3]
	s_mov_b32 s2, 0xae4086c1
	s_mov_b32 s3, 0xbd26fdb3
	;; [unrolled: 1-line block ×4, first 2 shown]
	v_fma_f64 v[0:1], v[6:7], v[0:1], s[2:3]
	s_mov_b32 s2, 0xcbe87f6
	s_mov_b32 s3, 0x3d62edc5
	s_delay_alu instid0(VALU_DEP_1) | instid1(SALU_CYCLE_1)
	v_fma_f64 v[0:1], v[6:7], v[0:1], s[2:3]
	s_mov_b32 s2, 0xc8feadcf
	s_mov_b32 s3, 0x3d808e18
	s_delay_alu instid0(VALU_DEP_1) | instid1(SALU_CYCLE_1)
	;; [unrolled: 4-line block ×10, first 2 shown]
	v_fma_f64 v[0:1], v[6:7], v[0:1], s[2:3]
	s_mov_b32 s2, 0xfef600c8
	s_mov_b32 s3, 0xbd0860a0
	s_delay_alu instid0(SALU_CYCLE_1) | instskip(SKIP_4) | instid1(VALU_DEP_1)
	v_fma_f64 v[4:5], v[6:7], s[6:7], s[2:3]
	s_mov_b32 s2, 0xfc8f075b
	s_mov_b32 s3, 0xbd6e2f6c
	;; [unrolled: 1-line block ×4, first 2 shown]
	v_fma_f64 v[4:5], v[6:7], v[4:5], s[2:3]
	s_mov_b32 s2, 0x941ba9c7
	s_mov_b32 s3, 0x3d9d36bc
	s_delay_alu instid0(VALU_DEP_1) | instid1(SALU_CYCLE_1)
	v_fma_f64 v[4:5], v[6:7], v[4:5], s[2:3]
	s_mov_b32 s2, 0x5f24a935
	s_mov_b32 s3, 0x3dca61b8
	s_delay_alu instid0(VALU_DEP_1) | instid1(SALU_CYCLE_1)
	;; [unrolled: 4-line block ×10, first 2 shown]
	v_fma_f64 v[4:5], v[6:7], v[4:5], s[2:3]
	s_mov_b32 s2, 0xd5d0b913
	s_mov_b32 s3, 0xbd1ec9e9
	s_delay_alu instid0(SALU_CYCLE_1)
	v_fma_f64 v[10:11], v[6:7], s[6:7], s[2:3]
	s_mov_b32 s2, 0x3978e7de
	s_mov_b32 s3, 0xbd563763
	s_delay_alu instid0(VALU_DEP_1) | instid1(SALU_CYCLE_1)
	v_fma_f64 v[10:11], v[6:7], v[10:11], s[2:3]
	s_mov_b32 s2, 0x7793c71a
	s_mov_b32 s3, 0x3da307d7
	s_delay_alu instid0(VALU_DEP_1) | instid1(SALU_CYCLE_1)
	;; [unrolled: 4-line block ×12, first 2 shown]
	v_fma_f64 v[6:7], v[6:7], v[10:11], s[2:3]
	v_add_f64 v[10:11], v[0:1], 1.0
	s_delay_alu instid0(VALU_DEP_1) | instskip(NEXT) | instid1(VALU_DEP_1)
	v_div_scale_f64 v[26:27], null, v[10:11], v[10:11], v[0:1]
	v_rcp_f64_e32 v[48:49], v[26:27]
	s_waitcnt_depctr 0xfff
	v_fma_f64 v[50:51], -v[26:27], v[48:49], 1.0
	s_delay_alu instid0(VALU_DEP_1) | instskip(NEXT) | instid1(VALU_DEP_1)
	v_fma_f64 v[48:49], v[48:49], v[50:51], v[48:49]
	v_fma_f64 v[50:51], -v[26:27], v[48:49], 1.0
	s_delay_alu instid0(VALU_DEP_1) | instskip(SKIP_1) | instid1(VALU_DEP_1)
	v_fma_f64 v[48:49], v[48:49], v[50:51], v[48:49]
	v_div_scale_f64 v[50:51], vcc_lo, v[0:1], v[10:11], v[0:1]
	v_mul_f64 v[52:53], v[50:51], v[48:49]
	s_delay_alu instid0(VALU_DEP_1) | instskip(NEXT) | instid1(VALU_DEP_1)
	v_fma_f64 v[26:27], -v[26:27], v[52:53], v[50:51]
	v_div_fmas_f64 v[26:27], v[26:27], v[48:49], v[52:53]
	s_delay_alu instid0(VALU_DEP_1) | instskip(SKIP_1) | instid1(VALU_DEP_1)
	v_div_fixup_f64 v[10:11], v[26:27], v[10:11], v[0:1]
	v_add_f64 v[26:27], v[4:5], 1.0
	v_div_scale_f64 v[48:49], null, v[26:27], v[26:27], v[4:5]
	s_delay_alu instid0(VALU_DEP_1) | instskip(SKIP_2) | instid1(VALU_DEP_1)
	v_rcp_f64_e32 v[50:51], v[48:49]
	s_waitcnt_depctr 0xfff
	v_fma_f64 v[52:53], -v[48:49], v[50:51], 1.0
	v_fma_f64 v[50:51], v[50:51], v[52:53], v[50:51]
	s_delay_alu instid0(VALU_DEP_1) | instskip(NEXT) | instid1(VALU_DEP_1)
	v_fma_f64 v[52:53], -v[48:49], v[50:51], 1.0
	v_fma_f64 v[50:51], v[50:51], v[52:53], v[50:51]
	v_div_scale_f64 v[52:53], vcc_lo, v[4:5], v[26:27], v[4:5]
	s_delay_alu instid0(VALU_DEP_1) | instskip(NEXT) | instid1(VALU_DEP_1)
	v_mul_f64 v[54:55], v[52:53], v[50:51]
	v_fma_f64 v[48:49], -v[48:49], v[54:55], v[52:53]
	s_delay_alu instid0(VALU_DEP_1) | instskip(NEXT) | instid1(VALU_DEP_1)
	v_div_fmas_f64 v[48:49], v[48:49], v[50:51], v[54:55]
	v_div_fixup_f64 v[26:27], v[48:49], v[26:27], v[4:5]
	v_add_f64 v[48:49], v[6:7], 1.0
	s_delay_alu instid0(VALU_DEP_1) | instskip(NEXT) | instid1(VALU_DEP_1)
	v_div_scale_f64 v[50:51], null, v[48:49], v[48:49], v[6:7]
	v_rcp_f64_e32 v[52:53], v[50:51]
	s_waitcnt_depctr 0xfff
	v_fma_f64 v[54:55], -v[50:51], v[52:53], 1.0
	s_delay_alu instid0(VALU_DEP_1) | instskip(NEXT) | instid1(VALU_DEP_1)
	v_fma_f64 v[52:53], v[52:53], v[54:55], v[52:53]
	v_fma_f64 v[54:55], -v[50:51], v[52:53], 1.0
	s_delay_alu instid0(VALU_DEP_1) | instskip(SKIP_1) | instid1(VALU_DEP_1)
	v_fma_f64 v[52:53], v[52:53], v[54:55], v[52:53]
	v_div_scale_f64 v[54:55], vcc_lo, v[6:7], v[48:49], v[6:7]
	v_mul_f64 v[113:114], v[54:55], v[52:53]
	s_delay_alu instid0(VALU_DEP_1) | instskip(NEXT) | instid1(VALU_DEP_1)
	v_fma_f64 v[50:51], -v[50:51], v[113:114], v[54:55]
	v_div_fmas_f64 v[50:51], v[50:51], v[52:53], v[113:114]
	s_delay_alu instid0(VALU_DEP_1) | instskip(SKIP_2) | instid1(VALU_DEP_3)
	v_div_fixup_f64 v[48:49], v[50:51], v[48:49], v[6:7]
	v_fma_f64 v[50:51], -v[34:35], v[10:11], v[14:15]
	v_fma_f64 v[34:35], -v[2:3], v[10:11], v[34:35]
	v_add_f64 v[52:53], v[48:49], -v[26:27]
	v_add_f64 v[54:55], v[48:49], -v[10:11]
	s_delay_alu instid0(VALU_DEP_3) | instskip(SKIP_2) | instid1(VALU_DEP_4)
	v_fma_f64 v[14:15], -v[26:27], v[34:35], v[50:51]
	v_add_f64 v[10:11], v[26:27], -v[10:11]
	v_fma_f64 v[34:35], v[48:49], v[34:35], -v[50:51]
	v_mul_f64 v[54:55], v[52:53], v[54:55]
	s_delay_alu instid0(VALU_DEP_3) | instskip(NEXT) | instid1(VALU_DEP_2)
	v_mul_f64 v[10:11], v[10:11], v[52:53]
	v_div_scale_f64 v[113:114], null, v[54:55], v[54:55], v[14:15]
	s_delay_alu instid0(VALU_DEP_2) | instskip(NEXT) | instid1(VALU_DEP_2)
	v_div_scale_f64 v[26:27], null, v[10:11], v[10:11], v[34:35]
	v_rcp_f64_e32 v[115:116], v[113:114]
	s_delay_alu instid0(VALU_DEP_1) | instskip(SKIP_3) | instid1(VALU_DEP_2)
	v_rcp_f64_e32 v[48:49], v[26:27]
	s_waitcnt_depctr 0xfff
	v_fma_f64 v[117:118], -v[113:114], v[115:116], 1.0
	v_fma_f64 v[50:51], -v[26:27], v[48:49], 1.0
	v_fma_f64 v[115:116], v[115:116], v[117:118], v[115:116]
	s_delay_alu instid0(VALU_DEP_2) | instskip(NEXT) | instid1(VALU_DEP_2)
	v_fma_f64 v[48:49], v[48:49], v[50:51], v[48:49]
	v_fma_f64 v[117:118], -v[113:114], v[115:116], 1.0
	s_delay_alu instid0(VALU_DEP_2) | instskip(NEXT) | instid1(VALU_DEP_2)
	v_fma_f64 v[50:51], -v[26:27], v[48:49], 1.0
	v_fma_f64 v[115:116], v[115:116], v[117:118], v[115:116]
	v_div_scale_f64 v[117:118], vcc_lo, v[14:15], v[54:55], v[14:15]
	s_delay_alu instid0(VALU_DEP_3) | instskip(NEXT) | instid1(VALU_DEP_2)
	v_fma_f64 v[48:49], v[48:49], v[50:51], v[48:49]
	v_mul_f64 v[128:129], v[117:118], v[115:116]
	s_delay_alu instid0(VALU_DEP_1) | instskip(NEXT) | instid1(VALU_DEP_1)
	v_fma_f64 v[113:114], -v[113:114], v[128:129], v[117:118]
	v_div_fmas_f64 v[113:114], v[113:114], v[115:116], v[128:129]
	v_div_scale_f64 v[50:51], vcc_lo, v[34:35], v[10:11], v[34:35]
	s_delay_alu instid0(VALU_DEP_2) | instskip(NEXT) | instid1(VALU_DEP_2)
	v_div_fixup_f64 v[14:15], v[113:114], v[54:55], v[14:15]
	v_mul_f64 v[52:53], v[50:51], v[48:49]
	s_delay_alu instid0(VALU_DEP_1) | instskip(NEXT) | instid1(VALU_DEP_1)
	v_fma_f64 v[26:27], -v[26:27], v[52:53], v[50:51]
	v_div_fmas_f64 v[26:27], v[26:27], v[48:49], v[52:53]
	s_delay_alu instid0(VALU_DEP_1) | instskip(NEXT) | instid1(VALU_DEP_1)
	v_div_fixup_f64 v[26:27], v[26:27], v[10:11], v[34:35]
	v_add_f64 v[2:3], v[2:3], -v[26:27]
	s_delay_alu instid0(VALU_DEP_1)
	v_add_f64 v[2:3], v[2:3], -v[14:15]
.LBB0_135:
	s_or_b32 exec_lo, exec_lo, s1
                                        ; implicit-def: $vgpr10_vgpr11
                                        ; implicit-def: $vgpr48_vgpr49
                                        ; implicit-def: $vgpr34_vgpr35
.LBB0_136:
	s_and_not1_saveexec_b32 s6, s0
	s_cbranch_execz .LBB0_138
; %bb.137:
	s_mov_b32 s0, 0xfb97540
	s_mov_b32 s1, 0xc0c0c00c
	;; [unrolled: 1-line block ×3, first 2 shown]
	v_div_scale_f64 v[0:1], null, v[10:11], v[10:11], s[0:1]
	v_div_scale_f64 v[14:15], vcc_lo, s[0:1], v[10:11], s[0:1]
	s_mov_b32 s2, 0xafdb7b47
	s_mov_b32 s8, 0x19de963f
	;; [unrolled: 1-line block ×9, first 2 shown]
	s_delay_alu instid0(VALU_DEP_2) | instskip(SKIP_2) | instid1(VALU_DEP_1)
	v_rcp_f64_e32 v[4:5], v[0:1]
	s_waitcnt_depctr 0xfff
	v_fma_f64 v[6:7], -v[0:1], v[4:5], 1.0
	v_fma_f64 v[4:5], v[4:5], v[6:7], v[4:5]
	s_delay_alu instid0(VALU_DEP_1) | instskip(NEXT) | instid1(VALU_DEP_1)
	v_fma_f64 v[6:7], -v[0:1], v[4:5], 1.0
	v_fma_f64 v[4:5], v[4:5], v[6:7], v[4:5]
	s_delay_alu instid0(VALU_DEP_1) | instskip(NEXT) | instid1(VALU_DEP_1)
	v_mul_f64 v[6:7], v[14:15], v[4:5]
	v_fma_f64 v[0:1], -v[0:1], v[6:7], v[14:15]
	s_delay_alu instid0(VALU_DEP_1) | instskip(NEXT) | instid1(VALU_DEP_1)
	v_div_fmas_f64 v[0:1], v[0:1], v[4:5], v[6:7]
	v_div_fixup_f64 v[0:1], v[0:1], v[10:11], s[0:1]
	s_mov_b32 s0, 0x34922721
	s_mov_b32 s1, 0x40b7160f
	s_delay_alu instid0(VALU_DEP_1) | instid1(SALU_CYCLE_1)
	v_add_f64 v[0:1], v[0:1], s[0:1]
	s_mov_b32 s0, 0x9d14ec54
	s_mov_b32 s1, 0xc09ab04e
	s_delay_alu instid0(VALU_DEP_1) | instskip(SKIP_1) | instid1(VALU_DEP_2)
	v_div_scale_f64 v[4:5], null, v[10:11], v[10:11], v[0:1]
	v_div_scale_f64 v[26:27], vcc_lo, v[0:1], v[10:11], v[0:1]
	v_rcp_f64_e32 v[6:7], v[4:5]
	s_waitcnt_depctr 0xfff
	v_fma_f64 v[14:15], -v[4:5], v[6:7], 1.0
	s_delay_alu instid0(VALU_DEP_1) | instskip(NEXT) | instid1(VALU_DEP_1)
	v_fma_f64 v[6:7], v[6:7], v[14:15], v[6:7]
	v_fma_f64 v[14:15], -v[4:5], v[6:7], 1.0
	s_delay_alu instid0(VALU_DEP_1) | instskip(NEXT) | instid1(VALU_DEP_1)
	v_fma_f64 v[6:7], v[6:7], v[14:15], v[6:7]
	v_mul_f64 v[14:15], v[26:27], v[6:7]
	s_delay_alu instid0(VALU_DEP_1) | instskip(NEXT) | instid1(VALU_DEP_1)
	v_fma_f64 v[4:5], -v[4:5], v[14:15], v[26:27]
	v_div_fmas_f64 v[4:5], v[4:5], v[6:7], v[14:15]
	s_delay_alu instid0(VALU_DEP_1) | instskip(NEXT) | instid1(VALU_DEP_1)
	v_div_fixup_f64 v[0:1], v[4:5], v[10:11], v[0:1]
	v_add_f64 v[0:1], v[0:1], s[0:1]
	s_mov_b32 s0, 0x48360283
	s_mov_b32 s1, 0x40708896
	s_delay_alu instid0(VALU_DEP_1) | instskip(SKIP_1) | instid1(VALU_DEP_2)
	v_div_scale_f64 v[4:5], null, v[10:11], v[10:11], v[0:1]
	v_div_scale_f64 v[26:27], vcc_lo, v[0:1], v[10:11], v[0:1]
	v_rcp_f64_e32 v[6:7], v[4:5]
	s_waitcnt_depctr 0xfff
	v_fma_f64 v[14:15], -v[4:5], v[6:7], 1.0
	s_delay_alu instid0(VALU_DEP_1) | instskip(NEXT) | instid1(VALU_DEP_1)
	v_fma_f64 v[6:7], v[6:7], v[14:15], v[6:7]
	v_fma_f64 v[14:15], -v[4:5], v[6:7], 1.0
	s_delay_alu instid0(VALU_DEP_1) | instskip(NEXT) | instid1(VALU_DEP_1)
	v_fma_f64 v[6:7], v[6:7], v[14:15], v[6:7]
	v_mul_f64 v[14:15], v[26:27], v[6:7]
	s_delay_alu instid0(VALU_DEP_1) | instskip(SKIP_1) | instid1(VALU_DEP_2)
	v_fma_f64 v[4:5], -v[4:5], v[14:15], v[26:27]
	v_div_scale_f64 v[26:27], null, v[10:11], v[10:11], s[8:9]
	v_div_fmas_f64 v[4:5], v[4:5], v[6:7], v[14:15]
	s_delay_alu instid0(VALU_DEP_2) | instskip(NEXT) | instid1(VALU_DEP_1)
	v_rcp_f64_e32 v[54:55], v[26:27]
	v_div_fixup_f64 v[0:1], v[4:5], v[10:11], v[0:1]
	v_add_f64 v[4:5], v[10:11], s[2:3]
	s_mov_b32 s3, 0x3fd19dc7
	s_waitcnt_depctr 0xfff
	v_fma_f64 v[117:118], -v[26:27], v[54:55], 1.0
	v_add_f64 v[0:1], v[0:1], s[0:1]
	v_div_scale_f64 v[14:15], null, v[4:5], v[4:5], s[2:3]
	s_delay_alu instid0(VALU_DEP_3) | instskip(NEXT) | instid1(VALU_DEP_3)
	v_fma_f64 v[54:55], v[54:55], v[117:118], v[54:55]
	v_div_scale_f64 v[6:7], null, v[10:11], v[10:11], v[0:1]
	s_delay_alu instid0(VALU_DEP_3) | instskip(NEXT) | instid1(VALU_DEP_2)
	v_rcp_f64_e32 v[52:53], v[14:15]
	v_fma_f64 v[117:118], -v[26:27], v[54:55], 1.0
	v_div_scale_f64 v[128:129], vcc_lo, v[0:1], v[10:11], v[0:1]
	s_delay_alu instid0(VALU_DEP_3) | instskip(NEXT) | instid1(VALU_DEP_2)
	v_rcp_f64_e32 v[50:51], v[6:7]
	v_fma_f64 v[54:55], v[54:55], v[117:118], v[54:55]
	s_waitcnt_depctr 0xfff
	v_fma_f64 v[115:116], -v[14:15], v[52:53], 1.0
	v_fma_f64 v[113:114], -v[6:7], v[50:51], 1.0
	s_delay_alu instid0(VALU_DEP_2) | instskip(NEXT) | instid1(VALU_DEP_2)
	v_fma_f64 v[52:53], v[52:53], v[115:116], v[52:53]
	v_fma_f64 v[50:51], v[50:51], v[113:114], v[50:51]
	s_delay_alu instid0(VALU_DEP_2) | instskip(NEXT) | instid1(VALU_DEP_2)
	v_fma_f64 v[115:116], -v[14:15], v[52:53], 1.0
	v_fma_f64 v[113:114], -v[6:7], v[50:51], 1.0
	s_delay_alu instid0(VALU_DEP_2) | instskip(SKIP_1) | instid1(VALU_DEP_3)
	v_fma_f64 v[52:53], v[52:53], v[115:116], v[52:53]
	v_div_scale_f64 v[115:116], s1, s[8:9], v[10:11], s[8:9]
	v_fma_f64 v[50:51], v[50:51], v[113:114], v[50:51]
	v_div_scale_f64 v[113:114], s0, s[2:3], v[4:5], s[2:3]
	s_delay_alu instid0(VALU_DEP_3) | instskip(NEXT) | instid1(VALU_DEP_3)
	v_mul_f64 v[132:133], v[115:116], v[54:55]
	v_mul_f64 v[117:118], v[128:129], v[50:51]
	s_delay_alu instid0(VALU_DEP_3) | instskip(NEXT) | instid1(VALU_DEP_3)
	v_mul_f64 v[130:131], v[113:114], v[52:53]
	v_fma_f64 v[26:27], -v[26:27], v[132:133], v[115:116]
	s_delay_alu instid0(VALU_DEP_3) | instskip(NEXT) | instid1(VALU_DEP_3)
	v_fma_f64 v[6:7], -v[6:7], v[117:118], v[128:129]
	v_fma_f64 v[14:15], -v[14:15], v[130:131], v[113:114]
	s_delay_alu instid0(VALU_DEP_2) | instskip(SKIP_1) | instid1(VALU_DEP_2)
	v_div_fmas_f64 v[6:7], v[6:7], v[50:51], v[117:118]
	s_mov_b32 vcc_lo, s0
	v_div_fmas_f64 v[14:15], v[14:15], v[52:53], v[130:131]
	s_mov_b32 vcc_lo, s1
	s_mov_b32 s0, 0x7f0e6f2c
	v_div_fmas_f64 v[26:27], v[26:27], v[54:55], v[132:133]
	s_mov_b32 s1, 0xc09067f6
	s_delay_alu instid0(VALU_DEP_3) | instskip(NEXT) | instid1(VALU_DEP_3)
	v_div_fixup_f64 v[0:1], v[6:7], v[10:11], v[0:1]
	v_div_fixup_f64 v[4:5], v[14:15], v[4:5], s[2:3]
	v_add_f64 v[14:15], v[34:35], -v[2:3]
	s_delay_alu instid0(VALU_DEP_4) | instskip(SKIP_2) | instid1(VALU_DEP_1)
	v_div_fixup_f64 v[26:27], v[26:27], v[10:11], s[8:9]
	s_mov_b32 s9, 0xc005cc47
	s_mov_b32 s8, 0xa049083
	v_add_f64 v[26:27], v[26:27], s[0:1]
	s_mov_b32 s0, 0x9eeef91a
	s_mov_b32 s1, 0x40753e43
	s_delay_alu instid0(VALU_DEP_1) | instskip(SKIP_1) | instid1(VALU_DEP_2)
	v_div_scale_f64 v[50:51], null, v[10:11], v[10:11], v[26:27]
	v_div_scale_f64 v[113:114], vcc_lo, v[26:27], v[10:11], v[26:27]
	v_rcp_f64_e32 v[52:53], v[50:51]
	s_waitcnt_depctr 0xfff
	v_fma_f64 v[54:55], -v[50:51], v[52:53], 1.0
	s_delay_alu instid0(VALU_DEP_1) | instskip(NEXT) | instid1(VALU_DEP_1)
	v_fma_f64 v[52:53], v[52:53], v[54:55], v[52:53]
	v_fma_f64 v[54:55], -v[50:51], v[52:53], 1.0
	s_delay_alu instid0(VALU_DEP_1) | instskip(NEXT) | instid1(VALU_DEP_1)
	v_fma_f64 v[52:53], v[52:53], v[54:55], v[52:53]
	v_mul_f64 v[54:55], v[113:114], v[52:53]
	s_delay_alu instid0(VALU_DEP_1) | instskip(NEXT) | instid1(VALU_DEP_1)
	v_fma_f64 v[50:51], -v[50:51], v[54:55], v[113:114]
	v_div_fmas_f64 v[50:51], v[50:51], v[52:53], v[54:55]
	s_delay_alu instid0(VALU_DEP_1) | instskip(NEXT) | instid1(VALU_DEP_1)
	v_div_fixup_f64 v[26:27], v[50:51], v[10:11], v[26:27]
	v_add_f64 v[26:27], v[26:27], s[0:1]
	s_mov_b32 s0, 0xe25f0df2
	s_mov_b32 s1, 0xc06385e9
	s_delay_alu instid0(VALU_DEP_1) | instskip(SKIP_1) | instid1(VALU_DEP_2)
	v_div_scale_f64 v[50:51], null, v[10:11], v[10:11], v[26:27]
	v_div_scale_f64 v[113:114], vcc_lo, v[26:27], v[10:11], v[26:27]
	v_rcp_f64_e32 v[52:53], v[50:51]
	s_waitcnt_depctr 0xfff
	v_fma_f64 v[54:55], -v[50:51], v[52:53], 1.0
	s_delay_alu instid0(VALU_DEP_1) | instskip(NEXT) | instid1(VALU_DEP_1)
	v_fma_f64 v[52:53], v[52:53], v[54:55], v[52:53]
	v_fma_f64 v[54:55], -v[50:51], v[52:53], 1.0
	s_delay_alu instid0(VALU_DEP_1) | instskip(NEXT) | instid1(VALU_DEP_1)
	v_fma_f64 v[52:53], v[52:53], v[54:55], v[52:53]
	v_mul_f64 v[54:55], v[113:114], v[52:53]
	s_delay_alu instid0(VALU_DEP_1) | instskip(NEXT) | instid1(VALU_DEP_1)
	v_fma_f64 v[50:51], -v[50:51], v[54:55], v[113:114]
	v_div_fmas_f64 v[50:51], v[50:51], v[52:53], v[54:55]
	v_add_f64 v[52:53], v[10:11], s[8:9]
	s_mov_b32 s9, 0x4005cc47
	s_delay_alu instid0(VALU_DEP_2) | instskip(NEXT) | instid1(VALU_DEP_2)
	v_div_fixup_f64 v[26:27], v[50:51], v[10:11], v[26:27]
	v_div_scale_f64 v[113:114], null, v[52:53], v[52:53], s[8:9]
	s_delay_alu instid0(VALU_DEP_2) | instskip(NEXT) | instid1(VALU_DEP_2)
	v_add_f64 v[26:27], v[26:27], s[0:1]
	v_rcp_f64_e32 v[117:118], v[113:114]
	s_mov_b32 s0, 0x864df747
	s_mov_b32 s1, 0x3f53937b
	s_delay_alu instid0(SALU_CYCLE_1) | instskip(SKIP_3) | instid1(VALU_DEP_3)
	v_fma_f64 v[132:133], v[10:11], s[16:17], s[0:1]
	v_div_scale_f64 v[134:135], s0, s[8:9], v[52:53], s[8:9]
	s_mov_b32 s16, 0x181a5cbe
	s_mov_b32 s17, 0xbfb13f8e
	v_div_scale_f64 v[50:51], null, v[10:11], v[10:11], v[26:27]
	s_delay_alu instid0(VALU_DEP_1) | instskip(SKIP_2) | instid1(VALU_DEP_1)
	v_rcp_f64_e32 v[54:55], v[50:51]
	s_waitcnt_depctr 0xfff
	v_fma_f64 v[115:116], -v[50:51], v[54:55], 1.0
	v_fma_f64 v[54:55], v[54:55], v[115:116], v[54:55]
	v_fma_f64 v[115:116], -v[113:114], v[117:118], 1.0
	s_delay_alu instid0(VALU_DEP_2) | instskip(NEXT) | instid1(VALU_DEP_2)
	v_fma_f64 v[128:129], -v[50:51], v[54:55], 1.0
	v_fma_f64 v[115:116], v[117:118], v[115:116], v[117:118]
	v_div_scale_f64 v[117:118], vcc_lo, v[26:27], v[10:11], v[26:27]
	s_delay_alu instid0(VALU_DEP_3) | instskip(NEXT) | instid1(VALU_DEP_3)
	v_fma_f64 v[54:55], v[54:55], v[128:129], v[54:55]
	v_fma_f64 v[128:129], -v[113:114], v[115:116], 1.0
	s_delay_alu instid0(VALU_DEP_2) | instskip(NEXT) | instid1(VALU_DEP_2)
	v_mul_f64 v[130:131], v[117:118], v[54:55]
	v_fma_f64 v[115:116], v[115:116], v[128:129], v[115:116]
	v_fma_f64 v[128:129], v[10:11], s[20:21], s[18:19]
	s_mov_b32 s18, 0x2d914f9c
	s_mov_b32 s19, 0xc010e37f
	s_delay_alu instid0(VALU_DEP_3) | instskip(SKIP_1) | instid1(VALU_DEP_4)
	v_fma_f64 v[50:51], -v[50:51], v[130:131], v[117:118]
	v_fma_f64 v[117:118], v[10:11], v[132:133], s[16:17]
	v_mul_f64 v[132:133], v[134:135], v[115:116]
	s_mov_b32 s16, 0x72eb3b81
	s_mov_b32 s17, 0x3ff41ce6
	s_delay_alu instid0(VALU_DEP_4) | instskip(NEXT) | instid1(VALU_DEP_4)
	v_fma_f64 v[6:7], v[10:11], v[128:129], s[18:19]
	v_div_fmas_f64 v[50:51], v[50:51], v[54:55], v[130:131]
	s_delay_alu instid0(VALU_DEP_4) | instskip(NEXT) | instid1(VALU_DEP_4)
	v_fma_f64 v[54:55], v[10:11], v[117:118], s[16:17]
	v_fma_f64 v[113:114], -v[113:114], v[132:133], v[134:135]
	s_mov_b32 vcc_lo, s0
	s_mov_b32 s0, 0x9b15dddc
	s_mov_b32 s16, 0xbcdb75df
	;; [unrolled: 1-line block ×4, first 2 shown]
	s_delay_alu instid0(VALU_DEP_3) | instskip(NEXT) | instid1(VALU_DEP_3)
	v_div_fixup_f64 v[26:27], v[50:51], v[10:11], v[26:27]
	v_fma_f64 v[0:1], v[10:11], v[54:55], v[0:1]
	s_delay_alu instid0(VALU_DEP_3) | instskip(NEXT) | instid1(VALU_DEP_3)
	v_div_fmas_f64 v[50:51], v[113:114], v[115:116], v[132:133]
	v_fma_f64 v[6:7], v[10:11], v[6:7], v[26:27]
	s_delay_alu instid0(VALU_DEP_3) | instskip(NEXT) | instid1(VALU_DEP_3)
	v_add_f64 v[0:1], v[0:1], s[0:1]
	v_div_fixup_f64 v[10:11], v[50:51], v[52:53], s[8:9]
	s_delay_alu instid0(VALU_DEP_3) | instskip(NEXT) | instid1(VALU_DEP_3)
	v_add_f64 v[6:7], v[6:7], s[16:17]
	v_fma_f64 v[0:1], v[0:1], v[48:49], v[4:5]
	s_delay_alu instid0(VALU_DEP_2) | instskip(NEXT) | instid1(VALU_DEP_2)
	v_fma_f64 v[4:5], v[6:7], v[48:49], v[10:11]
	v_fma_f64 v[6:7], v[0:1], v[14:15], v[34:35]
	s_delay_alu instid0(VALU_DEP_2) | instskip(SKIP_1) | instid1(VALU_DEP_2)
	v_add_f64 v[10:11], v[4:5], 1.0
	v_add_f64 v[14:15], v[4:5], -v[0:1]
	v_mul_f64 v[6:7], v[10:11], v[6:7]
	s_delay_alu instid0(VALU_DEP_1) | instskip(NEXT) | instid1(VALU_DEP_1)
	v_div_scale_f64 v[10:11], null, v[14:15], v[14:15], v[6:7]
	v_rcp_f64_e32 v[26:27], v[10:11]
	s_waitcnt_depctr 0xfff
	v_fma_f64 v[34:35], -v[10:11], v[26:27], 1.0
	s_delay_alu instid0(VALU_DEP_1) | instskip(NEXT) | instid1(VALU_DEP_1)
	v_fma_f64 v[26:27], v[26:27], v[34:35], v[26:27]
	v_fma_f64 v[34:35], -v[10:11], v[26:27], 1.0
	s_delay_alu instid0(VALU_DEP_1) | instskip(SKIP_1) | instid1(VALU_DEP_1)
	v_fma_f64 v[26:27], v[26:27], v[34:35], v[26:27]
	v_div_scale_f64 v[34:35], vcc_lo, v[6:7], v[14:15], v[6:7]
	v_mul_f64 v[48:49], v[34:35], v[26:27]
	s_delay_alu instid0(VALU_DEP_1) | instskip(NEXT) | instid1(VALU_DEP_1)
	v_fma_f64 v[10:11], -v[10:11], v[48:49], v[34:35]
	v_div_fmas_f64 v[10:11], v[10:11], v[26:27], v[48:49]
	s_delay_alu instid0(VALU_DEP_1) | instskip(SKIP_2) | instid1(VALU_DEP_1)
	v_div_fixup_f64 v[26:27], v[10:11], v[14:15], v[6:7]
	v_mov_b32_e32 v14, 0
	v_mov_b32_e32 v15, 0
	v_dual_mov_b32 v6, v14 :: v_dual_mov_b32 v7, v15
	s_delay_alu instid0(VALU_DEP_4)
	v_add_f64 v[2:3], v[2:3], -v[26:27]
.LBB0_138:
	s_or_b32 exec_lo, exec_lo, s6
                                        ; implicit-def: $vgpr34_vgpr35
.LBB0_139:
	s_and_not1_saveexec_b32 s0, s5
	s_cbranch_execz .LBB0_143
; %bb.140:
	v_mov_b32_e32 v14, 0
	v_mov_b32_e32 v15, 0
	s_delay_alu instid0(VALU_DEP_2) | instskip(SKIP_1) | instid1(VALU_DEP_2)
	v_mov_b32_e32 v0, v14
	s_mov_b32 s1, exec_lo
	v_mov_b32_e32 v1, v15
	v_cmpx_eq_u32_e32 0, v107
	s_cbranch_execz .LBB0_142
; %bb.141:
	v_add_f64 v[0:1], v[2:3], -v[34:35]
	s_delay_alu instid0(VALU_DEP_1) | instskip(NEXT) | instid1(VALU_DEP_1)
	v_div_scale_f64 v[4:5], null, v[0:1], v[0:1], v[34:35]
	v_rcp_f64_e32 v[6:7], v[4:5]
	s_waitcnt_depctr 0xfff
	v_fma_f64 v[10:11], -v[4:5], v[6:7], 1.0
	s_delay_alu instid0(VALU_DEP_1) | instskip(NEXT) | instid1(VALU_DEP_1)
	v_fma_f64 v[6:7], v[6:7], v[10:11], v[6:7]
	v_fma_f64 v[10:11], -v[4:5], v[6:7], 1.0
	s_delay_alu instid0(VALU_DEP_1) | instskip(SKIP_1) | instid1(VALU_DEP_1)
	v_fma_f64 v[6:7], v[6:7], v[10:11], v[6:7]
	v_div_scale_f64 v[10:11], vcc_lo, v[34:35], v[0:1], v[34:35]
	v_mul_f64 v[26:27], v[10:11], v[6:7]
	s_delay_alu instid0(VALU_DEP_1) | instskip(NEXT) | instid1(VALU_DEP_1)
	v_fma_f64 v[4:5], -v[4:5], v[26:27], v[10:11]
	v_div_fmas_f64 v[4:5], v[4:5], v[6:7], v[26:27]
	s_delay_alu instid0(VALU_DEP_1)
	v_div_fixup_f64 v[0:1], v[4:5], v[0:1], v[34:35]
.LBB0_142:
	s_or_b32 exec_lo, exec_lo, s1
	v_dual_mov_b32 v27, v15 :: v_dual_mov_b32 v26, v14
	v_dual_mov_b32 v6, v14 :: v_dual_mov_b32 v7, v15
	;; [unrolled: 1-line block ×3, first 2 shown]
.LBB0_143:
	s_or_b32 exec_lo, exec_lo, s0
.LBB0_144:
	s_delay_alu instid0(SALU_CYCLE_1)
	s_or_b32 exec_lo, exec_lo, s4
                                        ; implicit-def: $vgpr10_vgpr11
.LBB0_145:
	s_and_not1_saveexec_b32 s1, s15
	s_cbranch_execz .LBB0_159
; %bb.146:
	s_mov_b32 s2, 0x320c7c1b
	s_mov_b32 s3, 0x3fde03b0
	;; [unrolled: 1-line block ×3, first 2 shown]
	v_div_scale_f64 v[0:1], null, v[10:11], v[10:11], s[2:3]
	v_div_scale_f64 v[6:7], vcc_lo, s[2:3], v[10:11], s[2:3]
	s_mov_b32 s5, 0xbff71547
	s_mov_b32 s6, 0x6a5dcb37
	v_mul_f64 v[48:49], v[10:11], s[4:5]
	s_mov_b32 s4, 0xfefa39ef
	s_mov_b32 s5, 0xbfe62e42
	;; [unrolled: 1-line block ×3, first 2 shown]
	s_delay_alu instid0(VALU_DEP_3) | instskip(SKIP_2) | instid1(VALU_DEP_1)
	v_rcp_f64_e32 v[2:3], v[0:1]
	s_waitcnt_depctr 0xfff
	v_fma_f64 v[4:5], -v[0:1], v[2:3], 1.0
	v_fma_f64 v[2:3], v[2:3], v[4:5], v[2:3]
	s_delay_alu instid0(VALU_DEP_1) | instskip(NEXT) | instid1(VALU_DEP_1)
	v_fma_f64 v[4:5], -v[0:1], v[2:3], 1.0
	v_fma_f64 v[2:3], v[2:3], v[4:5], v[2:3]
	s_delay_alu instid0(VALU_DEP_1) | instskip(NEXT) | instid1(VALU_DEP_1)
	v_mul_f64 v[4:5], v[6:7], v[2:3]
	v_fma_f64 v[0:1], -v[0:1], v[4:5], v[6:7]
	s_delay_alu instid0(VALU_DEP_1) | instskip(NEXT) | instid1(VALU_DEP_1)
	v_div_fmas_f64 v[0:1], v[0:1], v[2:3], v[4:5]
	v_div_fixup_f64 v[0:1], v[0:1], v[10:11], s[2:3]
	s_mov_b32 s2, 0x500ec265
	s_mov_b32 s3, 0xbfe662c3
	s_delay_alu instid0(VALU_DEP_1) | instid1(SALU_CYCLE_1)
	v_add_f64 v[0:1], v[0:1], s[2:3]
	s_mov_b32 s2, 0xe0bf7fc2
	s_mov_b32 s3, 0x3fe12e39
	s_delay_alu instid0(VALU_DEP_1) | instskip(SKIP_1) | instid1(VALU_DEP_2)
	v_div_scale_f64 v[2:3], null, v[10:11], v[10:11], v[0:1]
	v_div_scale_f64 v[14:15], vcc_lo, v[0:1], v[10:11], v[0:1]
	v_rcp_f64_e32 v[4:5], v[2:3]
	s_waitcnt_depctr 0xfff
	v_fma_f64 v[6:7], -v[2:3], v[4:5], 1.0
	s_delay_alu instid0(VALU_DEP_1) | instskip(NEXT) | instid1(VALU_DEP_1)
	v_fma_f64 v[4:5], v[4:5], v[6:7], v[4:5]
	v_fma_f64 v[6:7], -v[2:3], v[4:5], 1.0
	s_delay_alu instid0(VALU_DEP_1) | instskip(NEXT) | instid1(VALU_DEP_1)
	v_fma_f64 v[4:5], v[4:5], v[6:7], v[4:5]
	v_mul_f64 v[6:7], v[14:15], v[4:5]
	s_delay_alu instid0(VALU_DEP_1) | instskip(NEXT) | instid1(VALU_DEP_1)
	v_fma_f64 v[2:3], -v[2:3], v[6:7], v[14:15]
	v_div_fmas_f64 v[2:3], v[2:3], v[4:5], v[6:7]
	s_delay_alu instid0(VALU_DEP_1) | instskip(NEXT) | instid1(VALU_DEP_1)
	v_div_fixup_f64 v[0:1], v[2:3], v[10:11], v[0:1]
	v_add_f64 v[0:1], v[0:1], s[2:3]
	s_mov_b32 s2, 0x4299d9ed
	s_mov_b32 s3, 0xbfd50b8e
	s_delay_alu instid0(VALU_DEP_1) | instskip(SKIP_1) | instid1(VALU_DEP_2)
	v_div_scale_f64 v[2:3], null, v[10:11], v[10:11], v[0:1]
	v_div_scale_f64 v[14:15], vcc_lo, v[0:1], v[10:11], v[0:1]
	v_rcp_f64_e32 v[4:5], v[2:3]
	s_waitcnt_depctr 0xfff
	v_fma_f64 v[6:7], -v[2:3], v[4:5], 1.0
	s_delay_alu instid0(VALU_DEP_1) | instskip(NEXT) | instid1(VALU_DEP_1)
	v_fma_f64 v[4:5], v[4:5], v[6:7], v[4:5]
	v_fma_f64 v[6:7], -v[2:3], v[4:5], 1.0
	s_delay_alu instid0(VALU_DEP_1) | instskip(NEXT) | instid1(VALU_DEP_1)
	v_fma_f64 v[4:5], v[4:5], v[6:7], v[4:5]
	v_mul_f64 v[6:7], v[14:15], v[4:5]
	s_delay_alu instid0(VALU_DEP_1) | instskip(NEXT) | instid1(VALU_DEP_1)
	v_fma_f64 v[2:3], -v[2:3], v[6:7], v[14:15]
	v_div_fmas_f64 v[2:3], v[2:3], v[4:5], v[6:7]
	s_delay_alu instid0(VALU_DEP_1) | instskip(NEXT) | instid1(VALU_DEP_1)
	v_div_fixup_f64 v[0:1], v[2:3], v[10:11], v[0:1]
	;; [unrolled: 20-line block ×4, first 2 shown]
	v_add_f64 v[0:1], v[0:1], s[2:3]
	s_mov_b32 s2, 0x54442d15
	s_mov_b32 s3, 0x3fe921fb
	s_delay_alu instid0(SALU_CYCLE_1) | instskip(NEXT) | instid1(VALU_DEP_2)
	v_div_scale_f64 v[4:5], null, v[10:11], v[10:11], s[2:3]
	v_div_scale_f64 v[2:3], null, v[10:11], v[10:11], v[0:1]
	v_div_scale_f64 v[50:51], vcc_lo, v[0:1], v[10:11], v[0:1]
	s_delay_alu instid0(VALU_DEP_3) | instskip(NEXT) | instid1(VALU_DEP_2)
	v_rcp_f64_e32 v[14:15], v[4:5]
	v_rcp_f64_e32 v[6:7], v[2:3]
	s_waitcnt_depctr 0xfff
	v_fma_f64 v[34:35], -v[4:5], v[14:15], 1.0
	v_fma_f64 v[26:27], -v[2:3], v[6:7], 1.0
	s_delay_alu instid0(VALU_DEP_2) | instskip(NEXT) | instid1(VALU_DEP_2)
	v_fma_f64 v[14:15], v[14:15], v[34:35], v[14:15]
	v_fma_f64 v[6:7], v[6:7], v[26:27], v[6:7]
	s_delay_alu instid0(VALU_DEP_2) | instskip(NEXT) | instid1(VALU_DEP_2)
	v_fma_f64 v[34:35], -v[4:5], v[14:15], 1.0
	v_fma_f64 v[26:27], -v[2:3], v[6:7], 1.0
	s_delay_alu instid0(VALU_DEP_2) | instskip(SKIP_1) | instid1(VALU_DEP_3)
	v_fma_f64 v[14:15], v[14:15], v[34:35], v[14:15]
	v_rndne_f64_e32 v[34:35], v[48:49]
	v_fma_f64 v[6:7], v[6:7], v[26:27], v[6:7]
	v_div_scale_f64 v[26:27], s0, s[2:3], v[10:11], s[2:3]
	s_delay_alu instid0(VALU_DEP_3) | instskip(SKIP_2) | instid1(VALU_DEP_3)
	v_fma_f64 v[54:55], v[34:35], s[4:5], -v[10:11]
	s_mov_b32 s4, 0x3b39803f
	s_mov_b32 s5, 0xbc7abc9e
	v_mul_f64 v[48:49], v[50:51], v[6:7]
	s_delay_alu instid0(VALU_DEP_3) | instskip(NEXT) | instid1(VALU_DEP_2)
	v_mul_f64 v[52:53], v[26:27], v[14:15]
	v_fma_f64 v[2:3], -v[2:3], v[48:49], v[50:51]
	s_delay_alu instid0(VALU_DEP_2) | instskip(SKIP_4) | instid1(VALU_DEP_4)
	v_fma_f64 v[4:5], -v[4:5], v[52:53], v[26:27]
	v_fma_f64 v[26:27], v[34:35], s[4:5], v[54:55]
	s_mov_b32 s4, 0xfca7ab0c
	s_mov_b32 s5, 0x3e928af3
	v_cvt_i32_f64_e32 v34, v[34:35]
	v_div_fmas_f64 v[2:3], v[2:3], v[6:7], v[48:49]
	s_mov_b32 vcc_lo, s0
	s_delay_alu instid0(VALU_DEP_3) | instskip(SKIP_1) | instid1(VALU_DEP_3)
	v_fma_f64 v[6:7], v[26:27], s[6:7], s[4:5]
	v_div_fmas_f64 v[4:5], v[4:5], v[14:15], v[52:53]
	v_div_fixup_f64 v[0:1], v[2:3], v[10:11], v[0:1]
	s_delay_alu instid0(VALU_DEP_2)
	v_div_fixup_f64 v[4:5], v[4:5], v[10:11], s[2:3]
	s_mov_b32 s2, 0x623fde64
	s_mov_b32 s3, 0x3ec71dee
	s_delay_alu instid0(VALU_DEP_4) | instid1(SALU_CYCLE_1)
	v_fma_f64 v[6:7], v[26:27], v[6:7], s[2:3]
	s_mov_b32 s2, 0x7c89e6b0
	s_mov_b32 s3, 0x3efa0199
	s_delay_alu instid0(VALU_DEP_2) | instskip(NEXT) | instid1(VALU_DEP_2)
	v_cmp_gt_f64_e32 vcc_lo, 0x10000000, v[4:5]
	v_fma_f64 v[6:7], v[26:27], v[6:7], s[2:3]
	s_mov_b32 s2, 0x14761f6e
	s_mov_b32 s3, 0x3f2a01a0
	v_cndmask_b32_e64 v14, 0, 1, vcc_lo
	s_delay_alu instid0(VALU_DEP_2)
	v_fma_f64 v[6:7], v[26:27], v[6:7], s[2:3]
	s_mov_b32 s2, 0x1852b7b0
	s_mov_b32 s3, 0x3f56c16c
	s_delay_alu instid0(VALU_DEP_1) | instid1(SALU_CYCLE_1)
	v_fma_f64 v[6:7], v[26:27], v[6:7], s[2:3]
	s_mov_b32 s2, 0x11122322
	s_mov_b32 s3, 0x3f811111
	s_delay_alu instid0(VALU_DEP_1) | instid1(SALU_CYCLE_1)
	v_fma_f64 v[6:7], v[26:27], v[6:7], s[2:3]
	s_mov_b32 s2, 0x555502a1
	s_mov_b32 s3, 0x3fa55555
	s_delay_alu instid0(VALU_DEP_1) | instid1(SALU_CYCLE_1)
	v_fma_f64 v[6:7], v[26:27], v[6:7], s[2:3]
	s_mov_b32 s2, 0x55555511
	s_mov_b32 s3, 0x3fc55555
	s_delay_alu instid0(VALU_DEP_1) | instid1(SALU_CYCLE_1)
	v_fma_f64 v[6:7], v[26:27], v[6:7], s[2:3]
	s_mov_b32 s2, 11
	s_mov_b32 s3, 0x3fe00000
	s_delay_alu instid0(VALU_DEP_1) | instid1(SALU_CYCLE_1)
	v_fma_f64 v[6:7], v[26:27], v[6:7], s[2:3]
	s_mov_b32 s2, 0x1eb6fd83
	s_mov_b32 s3, 0xbeca6cce
	s_delay_alu instid0(SALU_CYCLE_1) | instskip(NEXT) | instid1(VALU_DEP_2)
	v_add_f64 v[0:1], v[0:1], s[2:3]
	v_fma_f64 v[6:7], v[26:27], v[6:7], 1.0
	s_delay_alu instid0(VALU_DEP_1) | instskip(SKIP_2) | instid1(VALU_DEP_3)
	v_fma_f64 v[6:7], v[26:27], v[6:7], 1.0
	v_cndmask_b32_e64 v26, 0, 0xffffff80, vcc_lo
	v_cmp_nlt_f64_e32 vcc_lo, 0x4090cc00, v[10:11]
	v_ldexp_f64 v[2:3], v[6:7], v34
	v_lshlrev_b32_e32 v14, 8, v14
	s_delay_alu instid0(VALU_DEP_1) | instskip(NEXT) | instid1(VALU_DEP_1)
	v_ldexp_f64 v[4:5], v[4:5], v14
	v_rsq_f64_e32 v[14:15], v[4:5]
	v_cmp_class_f64_e64 s0, v[4:5], 0x260
	s_waitcnt_depctr 0xfff
	v_mul_f64 v[48:49], v[4:5], v[14:15]
	v_mul_f64 v[14:15], v[14:15], 0.5
	s_delay_alu instid0(VALU_DEP_1) | instskip(NEXT) | instid1(VALU_DEP_1)
	v_fma_f64 v[50:51], -v[14:15], v[48:49], 0.5
	v_fma_f64 v[48:49], v[48:49], v[50:51], v[48:49]
	v_fma_f64 v[14:15], v[14:15], v[50:51], v[14:15]
	s_delay_alu instid0(VALU_DEP_2) | instskip(NEXT) | instid1(VALU_DEP_1)
	v_fma_f64 v[50:51], -v[48:49], v[48:49], v[4:5]
	v_fma_f64 v[48:49], v[50:51], v[14:15], v[48:49]
	s_delay_alu instid0(VALU_DEP_1) | instskip(NEXT) | instid1(VALU_DEP_1)
	v_fma_f64 v[50:51], -v[48:49], v[48:49], v[4:5]
	v_fma_f64 v[14:15], v[50:51], v[14:15], v[48:49]
	v_dual_cndmask_b32 v51, 0, v3 :: v_dual_cndmask_b32 v50, 0, v2
	v_add_f64 v[48:49], v[10:11], v[10:11]
	s_delay_alu instid0(VALU_DEP_3) | instskip(NEXT) | instid1(VALU_DEP_1)
	v_ldexp_f64 v[6:7], v[14:15], v26
	v_cndmask_b32_e64 v3, v7, v5, s0
	s_delay_alu instid0(VALU_DEP_2) | instskip(SKIP_1) | instid1(VALU_DEP_1)
	v_cndmask_b32_e64 v2, v6, v4, s0
	s_mov_b32 s0, exec_lo
	v_fma_f64 v[2:3], v[0:1], v[50:51], v[2:3]
	s_delay_alu instid0(VALU_DEP_1) | instskip(NEXT) | instid1(VALU_DEP_1)
	v_add_f64 v[0:1], v[2:3], -v[50:51]
	v_div_scale_f64 v[4:5], null, v[48:49], v[48:49], v[0:1]
	s_delay_alu instid0(VALU_DEP_1) | instskip(SKIP_2) | instid1(VALU_DEP_1)
	v_rcp_f64_e32 v[6:7], v[4:5]
	s_waitcnt_depctr 0xfff
	v_fma_f64 v[14:15], -v[4:5], v[6:7], 1.0
	v_fma_f64 v[6:7], v[6:7], v[14:15], v[6:7]
	s_delay_alu instid0(VALU_DEP_1) | instskip(NEXT) | instid1(VALU_DEP_1)
	v_fma_f64 v[14:15], -v[4:5], v[6:7], 1.0
	v_fma_f64 v[6:7], v[6:7], v[14:15], v[6:7]
	v_div_scale_f64 v[14:15], vcc_lo, v[0:1], v[48:49], v[0:1]
	s_delay_alu instid0(VALU_DEP_1) | instskip(NEXT) | instid1(VALU_DEP_1)
	v_mul_f64 v[26:27], v[14:15], v[6:7]
	v_fma_f64 v[4:5], -v[4:5], v[26:27], v[14:15]
                                        ; implicit-def: $vgpr14_vgpr15
	s_delay_alu instid0(VALU_DEP_1) | instskip(NEXT) | instid1(VALU_DEP_1)
	v_div_fmas_f64 v[4:5], v[4:5], v[6:7], v[26:27]
                                        ; implicit-def: $vgpr26_vgpr27
                                        ; implicit-def: $vgpr6_vgpr7
	v_div_fixup_f64 v[34:35], v[4:5], v[48:49], v[0:1]
                                        ; implicit-def: $vgpr4_vgpr5
                                        ; implicit-def: $vgpr0_vgpr1
	v_cmpx_lt_i32_e32 0, v107
	s_xor_b32 s0, exec_lo, s0
	s_cbranch_execz .LBB0_154
; %bb.147:
	s_mov_b32 s2, exec_lo
                                        ; implicit-def: $vgpr14_vgpr15
                                        ; implicit-def: $vgpr26_vgpr27
                                        ; implicit-def: $vgpr6_vgpr7
                                        ; implicit-def: $vgpr4_vgpr5
                                        ; implicit-def: $vgpr0_vgpr1
	v_cmpx_lt_i32_e32 1, v107
	s_xor_b32 s2, exec_lo, s2
	s_cbranch_execz .LBB0_151
; %bb.148:
	v_mov_b32_e32 v14, 0
	v_mov_b32_e32 v15, 0
	s_delay_alu instid0(VALU_DEP_2)
	v_mov_b32_e32 v6, v14
	v_mov_b32_e32 v4, v14
	;; [unrolled: 1-line block ×3, first 2 shown]
	s_mov_b32 s3, exec_lo
	v_mov_b32_e32 v1, v15
	v_dual_mov_b32 v27, v15 :: v_dual_mov_b32 v26, v14
	v_mov_b32_e32 v7, v15
	v_mov_b32_e32 v5, v15
	v_cmpx_eq_u32_e32 2, v107
	s_cbranch_execz .LBB0_150
; %bb.149:
	v_fma_f64 v[0:1], v[34:35], 2.0, v[34:35]
	s_mov_b32 s4, 0xd44f4e0
	s_mov_b32 s6, 0x136ccd62
	;; [unrolled: 1-line block ×4, first 2 shown]
	s_delay_alu instid0(VALU_DEP_1) | instskip(NEXT) | instid1(VALU_DEP_1)
	v_add_f64 v[0:1], v[0:1], -v[50:51]
	v_div_scale_f64 v[4:5], null, v[48:49], v[48:49], v[0:1]
	s_delay_alu instid0(VALU_DEP_1) | instskip(SKIP_2) | instid1(VALU_DEP_1)
	v_rcp_f64_e32 v[6:7], v[4:5]
	s_waitcnt_depctr 0xfff
	v_fma_f64 v[14:15], -v[4:5], v[6:7], 1.0
	v_fma_f64 v[6:7], v[6:7], v[14:15], v[6:7]
	s_delay_alu instid0(VALU_DEP_1) | instskip(NEXT) | instid1(VALU_DEP_1)
	v_fma_f64 v[14:15], -v[4:5], v[6:7], 1.0
	v_fma_f64 v[6:7], v[6:7], v[14:15], v[6:7]
	v_div_scale_f64 v[14:15], vcc_lo, v[0:1], v[48:49], v[0:1]
	s_delay_alu instid0(VALU_DEP_1) | instskip(NEXT) | instid1(VALU_DEP_1)
	v_mul_f64 v[26:27], v[14:15], v[6:7]
	v_fma_f64 v[4:5], -v[4:5], v[26:27], v[14:15]
	s_delay_alu instid0(VALU_DEP_1) | instskip(SKIP_1) | instid1(VALU_DEP_2)
	v_div_fmas_f64 v[4:5], v[4:5], v[6:7], v[26:27]
	v_add_f64 v[6:7], 0xc01e0000, v[10:11]
	v_div_fixup_f64 v[14:15], v[4:5], v[48:49], v[0:1]
	s_delay_alu instid0(VALU_DEP_2) | instskip(SKIP_4) | instid1(VALU_DEP_1)
	v_fma_f64 v[0:1], v[6:7], s[6:7], s[4:5]
	s_mov_b32 s4, 0x13514cb1
	s_mov_b32 s5, 0xbd32f64e
	;; [unrolled: 1-line block ×4, first 2 shown]
	v_fma_f64 v[0:1], v[6:7], v[0:1], s[4:5]
	s_mov_b32 s4, 0x9c556712
	s_mov_b32 s5, 0xbd660aa9
	s_delay_alu instid0(VALU_DEP_1) | instid1(SALU_CYCLE_1)
	v_fma_f64 v[0:1], v[6:7], v[0:1], s[4:5]
	s_mov_b32 s4, 0x75efb890
	s_mov_b32 s5, 0x3daced26
	s_delay_alu instid0(VALU_DEP_1) | instid1(SALU_CYCLE_1)
	;; [unrolled: 4-line block ×10, first 2 shown]
	v_fma_f64 v[0:1], v[6:7], v[0:1], s[4:5]
	s_mov_b32 s4, 0x96a2973a
	s_mov_b32 s5, 0x3cff7f3f
	s_delay_alu instid0(SALU_CYCLE_1) | instskip(SKIP_4) | instid1(VALU_DEP_1)
	v_fma_f64 v[4:5], v[6:7], s[6:7], s[4:5]
	s_mov_b32 s4, 0x9914dc55
	s_mov_b32 s5, 0xbd6e3e3e
	;; [unrolled: 1-line block ×4, first 2 shown]
	v_fma_f64 v[4:5], v[6:7], v[4:5], s[4:5]
	s_mov_b32 s4, 0x339d6523
	s_mov_b32 s5, 0xbd974816
	s_delay_alu instid0(VALU_DEP_1) | instid1(SALU_CYCLE_1)
	v_fma_f64 v[4:5], v[6:7], v[4:5], s[4:5]
	s_mov_b32 s4, 0x7f28a30b
	s_mov_b32 s5, 0xbdbb66d9
	s_delay_alu instid0(VALU_DEP_1) | instid1(SALU_CYCLE_1)
	;; [unrolled: 4-line block ×10, first 2 shown]
	v_fma_f64 v[4:5], v[6:7], v[4:5], s[4:5]
	s_mov_b32 s4, 0xae0d0bf3
	s_mov_b32 s5, 0x3d4a07ba
	s_delay_alu instid0(SALU_CYCLE_1)
	v_fma_f64 v[10:11], v[6:7], s[6:7], s[4:5]
	s_mov_b32 s4, 0xef3b2539
	s_mov_b32 s5, 0xbd817623
	s_delay_alu instid0(VALU_DEP_1) | instid1(SALU_CYCLE_1)
	v_fma_f64 v[10:11], v[6:7], v[10:11], s[4:5]
	s_mov_b32 s4, 0x7fd755ca
	s_mov_b32 s5, 0xbdb96415
	s_delay_alu instid0(VALU_DEP_1) | instid1(SALU_CYCLE_1)
	;; [unrolled: 4-line block ×12, first 2 shown]
	v_fma_f64 v[6:7], v[6:7], v[10:11], s[4:5]
	v_add_f64 v[10:11], v[0:1], 1.0
	s_delay_alu instid0(VALU_DEP_1) | instskip(NEXT) | instid1(VALU_DEP_1)
	v_div_scale_f64 v[26:27], null, v[10:11], v[10:11], v[0:1]
	v_rcp_f64_e32 v[48:49], v[26:27]
	s_waitcnt_depctr 0xfff
	v_fma_f64 v[50:51], -v[26:27], v[48:49], 1.0
	s_delay_alu instid0(VALU_DEP_1) | instskip(NEXT) | instid1(VALU_DEP_1)
	v_fma_f64 v[48:49], v[48:49], v[50:51], v[48:49]
	v_fma_f64 v[50:51], -v[26:27], v[48:49], 1.0
	s_delay_alu instid0(VALU_DEP_1) | instskip(SKIP_1) | instid1(VALU_DEP_1)
	v_fma_f64 v[48:49], v[48:49], v[50:51], v[48:49]
	v_div_scale_f64 v[50:51], vcc_lo, v[0:1], v[10:11], v[0:1]
	v_mul_f64 v[52:53], v[50:51], v[48:49]
	s_delay_alu instid0(VALU_DEP_1) | instskip(NEXT) | instid1(VALU_DEP_1)
	v_fma_f64 v[26:27], -v[26:27], v[52:53], v[50:51]
	v_div_fmas_f64 v[26:27], v[26:27], v[48:49], v[52:53]
	s_delay_alu instid0(VALU_DEP_1) | instskip(SKIP_1) | instid1(VALU_DEP_1)
	v_div_fixup_f64 v[10:11], v[26:27], v[10:11], v[0:1]
	v_add_f64 v[26:27], v[4:5], 1.0
	v_div_scale_f64 v[48:49], null, v[26:27], v[26:27], v[4:5]
	s_delay_alu instid0(VALU_DEP_1) | instskip(SKIP_2) | instid1(VALU_DEP_1)
	v_rcp_f64_e32 v[50:51], v[48:49]
	s_waitcnt_depctr 0xfff
	v_fma_f64 v[52:53], -v[48:49], v[50:51], 1.0
	v_fma_f64 v[50:51], v[50:51], v[52:53], v[50:51]
	s_delay_alu instid0(VALU_DEP_1) | instskip(NEXT) | instid1(VALU_DEP_1)
	v_fma_f64 v[52:53], -v[48:49], v[50:51], 1.0
	v_fma_f64 v[50:51], v[50:51], v[52:53], v[50:51]
	v_div_scale_f64 v[52:53], vcc_lo, v[4:5], v[26:27], v[4:5]
	s_delay_alu instid0(VALU_DEP_1) | instskip(NEXT) | instid1(VALU_DEP_1)
	v_mul_f64 v[54:55], v[52:53], v[50:51]
	v_fma_f64 v[48:49], -v[48:49], v[54:55], v[52:53]
	s_delay_alu instid0(VALU_DEP_1) | instskip(NEXT) | instid1(VALU_DEP_1)
	v_div_fmas_f64 v[48:49], v[48:49], v[50:51], v[54:55]
	v_div_fixup_f64 v[26:27], v[48:49], v[26:27], v[4:5]
	v_add_f64 v[48:49], v[6:7], 1.0
	s_delay_alu instid0(VALU_DEP_1) | instskip(NEXT) | instid1(VALU_DEP_1)
	v_div_scale_f64 v[50:51], null, v[48:49], v[48:49], v[6:7]
	v_rcp_f64_e32 v[52:53], v[50:51]
	s_waitcnt_depctr 0xfff
	v_fma_f64 v[54:55], -v[50:51], v[52:53], 1.0
	s_delay_alu instid0(VALU_DEP_1) | instskip(NEXT) | instid1(VALU_DEP_1)
	v_fma_f64 v[52:53], v[52:53], v[54:55], v[52:53]
	v_fma_f64 v[54:55], -v[50:51], v[52:53], 1.0
	s_delay_alu instid0(VALU_DEP_1) | instskip(SKIP_1) | instid1(VALU_DEP_1)
	v_fma_f64 v[52:53], v[52:53], v[54:55], v[52:53]
	v_div_scale_f64 v[54:55], vcc_lo, v[6:7], v[48:49], v[6:7]
	v_mul_f64 v[113:114], v[54:55], v[52:53]
	s_delay_alu instid0(VALU_DEP_1) | instskip(NEXT) | instid1(VALU_DEP_1)
	v_fma_f64 v[50:51], -v[50:51], v[113:114], v[54:55]
	v_div_fmas_f64 v[50:51], v[50:51], v[52:53], v[113:114]
	s_delay_alu instid0(VALU_DEP_1) | instskip(SKIP_2) | instid1(VALU_DEP_3)
	v_div_fixup_f64 v[48:49], v[50:51], v[48:49], v[6:7]
	v_fma_f64 v[50:51], -v[34:35], v[10:11], v[14:15]
	v_fma_f64 v[34:35], -v[2:3], v[10:11], v[34:35]
	v_add_f64 v[52:53], v[48:49], -v[26:27]
	v_add_f64 v[54:55], v[48:49], -v[10:11]
	s_delay_alu instid0(VALU_DEP_3) | instskip(SKIP_2) | instid1(VALU_DEP_4)
	v_fma_f64 v[14:15], -v[26:27], v[34:35], v[50:51]
	v_add_f64 v[10:11], v[26:27], -v[10:11]
	v_fma_f64 v[34:35], v[48:49], v[34:35], -v[50:51]
	v_mul_f64 v[54:55], v[52:53], v[54:55]
	s_delay_alu instid0(VALU_DEP_3) | instskip(NEXT) | instid1(VALU_DEP_2)
	v_mul_f64 v[10:11], v[10:11], v[52:53]
	v_div_scale_f64 v[113:114], null, v[54:55], v[54:55], v[14:15]
	s_delay_alu instid0(VALU_DEP_2) | instskip(NEXT) | instid1(VALU_DEP_2)
	v_div_scale_f64 v[26:27], null, v[10:11], v[10:11], v[34:35]
	v_rcp_f64_e32 v[115:116], v[113:114]
	s_delay_alu instid0(VALU_DEP_1) | instskip(SKIP_3) | instid1(VALU_DEP_2)
	v_rcp_f64_e32 v[48:49], v[26:27]
	s_waitcnt_depctr 0xfff
	v_fma_f64 v[117:118], -v[113:114], v[115:116], 1.0
	v_fma_f64 v[50:51], -v[26:27], v[48:49], 1.0
	v_fma_f64 v[115:116], v[115:116], v[117:118], v[115:116]
	s_delay_alu instid0(VALU_DEP_2) | instskip(NEXT) | instid1(VALU_DEP_2)
	v_fma_f64 v[48:49], v[48:49], v[50:51], v[48:49]
	v_fma_f64 v[117:118], -v[113:114], v[115:116], 1.0
	s_delay_alu instid0(VALU_DEP_2) | instskip(NEXT) | instid1(VALU_DEP_2)
	v_fma_f64 v[50:51], -v[26:27], v[48:49], 1.0
	v_fma_f64 v[115:116], v[115:116], v[117:118], v[115:116]
	v_div_scale_f64 v[117:118], vcc_lo, v[14:15], v[54:55], v[14:15]
	s_delay_alu instid0(VALU_DEP_3) | instskip(NEXT) | instid1(VALU_DEP_2)
	v_fma_f64 v[48:49], v[48:49], v[50:51], v[48:49]
	v_mul_f64 v[128:129], v[117:118], v[115:116]
	s_delay_alu instid0(VALU_DEP_1) | instskip(NEXT) | instid1(VALU_DEP_1)
	v_fma_f64 v[113:114], -v[113:114], v[128:129], v[117:118]
	v_div_fmas_f64 v[113:114], v[113:114], v[115:116], v[128:129]
	v_div_scale_f64 v[50:51], vcc_lo, v[34:35], v[10:11], v[34:35]
	s_delay_alu instid0(VALU_DEP_2) | instskip(NEXT) | instid1(VALU_DEP_2)
	v_div_fixup_f64 v[14:15], v[113:114], v[54:55], v[14:15]
	v_mul_f64 v[52:53], v[50:51], v[48:49]
	s_delay_alu instid0(VALU_DEP_1) | instskip(NEXT) | instid1(VALU_DEP_1)
	v_fma_f64 v[26:27], -v[26:27], v[52:53], v[50:51]
	v_div_fmas_f64 v[26:27], v[26:27], v[48:49], v[52:53]
	s_delay_alu instid0(VALU_DEP_1) | instskip(NEXT) | instid1(VALU_DEP_1)
	v_div_fixup_f64 v[26:27], v[26:27], v[10:11], v[34:35]
	v_add_f64 v[2:3], v[2:3], -v[26:27]
	s_delay_alu instid0(VALU_DEP_1)
	v_add_f64 v[2:3], v[2:3], -v[14:15]
.LBB0_150:
	s_or_b32 exec_lo, exec_lo, s3
                                        ; implicit-def: $vgpr10_vgpr11
                                        ; implicit-def: $vgpr34_vgpr35
.LBB0_151:
	s_and_not1_saveexec_b32 s2, s2
	s_cbranch_execz .LBB0_153
; %bb.152:
	v_add_f64 v[0:1], 0xc01e0000, v[10:11]
	s_mov_b32 s4, 0x9bb322b7
	s_mov_b32 s6, 0xc8096513
	;; [unrolled: 1-line block ×6, first 2 shown]
	s_delay_alu instid0(VALU_DEP_2) | instskip(NEXT) | instid1(VALU_DEP_2)
	v_add_f64 v[14:15], v[34:35], -v[2:3]
	v_fma_f64 v[4:5], v[0:1], s[6:7], s[4:5]
	s_mov_b32 s4, 0x8b28e7d9
	s_mov_b32 s6, 0x284a2a61
	;; [unrolled: 1-line block ×4, first 2 shown]
	s_delay_alu instid0(SALU_CYCLE_1) | instskip(SKIP_4) | instid1(VALU_DEP_2)
	v_fma_f64 v[6:7], v[0:1], s[6:7], s[4:5]
	s_mov_b32 s4, 0x73e17dd6
	s_mov_b32 s6, 0x704323a2
	s_mov_b32 s5, 0xbd8390c1
	s_mov_b32 s7, 0xbd33e286
	v_fma_f64 v[4:5], v[0:1], v[4:5], s[8:9]
	s_delay_alu instid0(VALU_DEP_2) | instskip(SKIP_2) | instid1(VALU_DEP_2)
	v_fma_f64 v[6:7], v[0:1], v[6:7], s[4:5]
	s_mov_b32 s4, 0x2901fb87
	s_mov_b32 s5, 0x3dc709b0
	v_fma_f64 v[4:5], v[0:1], v[4:5], s[6:7]
	s_mov_b32 s6, 0x7172d8d3
	s_mov_b32 s7, 0xbd6b28ed
	s_delay_alu instid0(VALU_DEP_2) | instskip(SKIP_2) | instid1(VALU_DEP_2)
	v_fma_f64 v[6:7], v[0:1], v[6:7], s[4:5]
	s_mov_b32 s4, 0x843be20f
	s_mov_b32 s5, 0xbdee8c82
	v_fma_f64 v[4:5], v[0:1], v[4:5], s[6:7]
	s_mov_b32 s6, 0x35babdf5
	s_mov_b32 s7, 0x3da12871
	;; [unrolled: 7-line block ×11, first 2 shown]
	s_delay_alu instid0(VALU_DEP_2) | instid1(SALU_CYCLE_1)
	v_fma_f64 v[4:5], v[0:1], v[6:7], s[6:7]
	s_delay_alu instid0(VALU_DEP_2) | instskip(NEXT) | instid1(VALU_DEP_2)
	v_fma_f64 v[0:1], v[0:1], v[10:11], s[4:5]
	v_add_f64 v[6:7], v[4:5], 1.0
	s_delay_alu instid0(VALU_DEP_2) | instskip(SKIP_1) | instid1(VALU_DEP_2)
	v_fma_f64 v[10:11], v[14:15], v[0:1], v[34:35]
	v_add_f64 v[14:15], v[4:5], -v[0:1]
	v_mul_f64 v[6:7], v[6:7], v[10:11]
	s_delay_alu instid0(VALU_DEP_1) | instskip(NEXT) | instid1(VALU_DEP_1)
	v_div_scale_f64 v[10:11], null, v[14:15], v[14:15], v[6:7]
	v_rcp_f64_e32 v[26:27], v[10:11]
	s_waitcnt_depctr 0xfff
	v_fma_f64 v[34:35], -v[10:11], v[26:27], 1.0
	s_delay_alu instid0(VALU_DEP_1) | instskip(NEXT) | instid1(VALU_DEP_1)
	v_fma_f64 v[26:27], v[26:27], v[34:35], v[26:27]
	v_fma_f64 v[34:35], -v[10:11], v[26:27], 1.0
	s_delay_alu instid0(VALU_DEP_1) | instskip(SKIP_1) | instid1(VALU_DEP_1)
	v_fma_f64 v[26:27], v[26:27], v[34:35], v[26:27]
	v_div_scale_f64 v[34:35], vcc_lo, v[6:7], v[14:15], v[6:7]
	v_mul_f64 v[48:49], v[34:35], v[26:27]
	s_delay_alu instid0(VALU_DEP_1) | instskip(NEXT) | instid1(VALU_DEP_1)
	v_fma_f64 v[10:11], -v[10:11], v[48:49], v[34:35]
	v_div_fmas_f64 v[10:11], v[10:11], v[26:27], v[48:49]
	s_delay_alu instid0(VALU_DEP_1) | instskip(SKIP_2) | instid1(VALU_DEP_1)
	v_div_fixup_f64 v[26:27], v[10:11], v[14:15], v[6:7]
	v_mov_b32_e32 v14, 0
	v_mov_b32_e32 v15, 0
	v_dual_mov_b32 v6, v14 :: v_dual_mov_b32 v7, v15
	s_delay_alu instid0(VALU_DEP_4)
	v_add_f64 v[2:3], v[2:3], -v[26:27]
.LBB0_153:
	s_or_b32 exec_lo, exec_lo, s2
                                        ; implicit-def: $vgpr34_vgpr35
.LBB0_154:
	s_and_not1_saveexec_b32 s0, s0
	s_cbranch_execz .LBB0_158
; %bb.155:
	v_mov_b32_e32 v14, 0
	v_mov_b32_e32 v15, 0
	s_delay_alu instid0(VALU_DEP_2) | instskip(SKIP_1) | instid1(VALU_DEP_2)
	v_mov_b32_e32 v0, v14
	s_mov_b32 s2, exec_lo
	v_mov_b32_e32 v1, v15
	v_cmpx_eq_u32_e32 0, v107
	s_cbranch_execz .LBB0_157
; %bb.156:
	v_add_f64 v[0:1], v[2:3], -v[34:35]
	s_delay_alu instid0(VALU_DEP_1) | instskip(NEXT) | instid1(VALU_DEP_1)
	v_div_scale_f64 v[4:5], null, v[0:1], v[0:1], v[34:35]
	v_rcp_f64_e32 v[6:7], v[4:5]
	s_waitcnt_depctr 0xfff
	v_fma_f64 v[10:11], -v[4:5], v[6:7], 1.0
	s_delay_alu instid0(VALU_DEP_1) | instskip(NEXT) | instid1(VALU_DEP_1)
	v_fma_f64 v[6:7], v[6:7], v[10:11], v[6:7]
	v_fma_f64 v[10:11], -v[4:5], v[6:7], 1.0
	s_delay_alu instid0(VALU_DEP_1) | instskip(SKIP_1) | instid1(VALU_DEP_1)
	v_fma_f64 v[6:7], v[6:7], v[10:11], v[6:7]
	v_div_scale_f64 v[10:11], vcc_lo, v[34:35], v[0:1], v[34:35]
	v_mul_f64 v[26:27], v[10:11], v[6:7]
	s_delay_alu instid0(VALU_DEP_1) | instskip(NEXT) | instid1(VALU_DEP_1)
	v_fma_f64 v[4:5], -v[4:5], v[26:27], v[10:11]
	v_div_fmas_f64 v[4:5], v[4:5], v[6:7], v[26:27]
	s_delay_alu instid0(VALU_DEP_1)
	v_div_fixup_f64 v[0:1], v[4:5], v[0:1], v[34:35]
.LBB0_157:
	s_or_b32 exec_lo, exec_lo, s2
	v_dual_mov_b32 v27, v15 :: v_dual_mov_b32 v26, v14
	v_dual_mov_b32 v6, v14 :: v_dual_mov_b32 v7, v15
	v_dual_mov_b32 v4, v14 :: v_dual_mov_b32 v5, v15
.LBB0_158:
	s_or_b32 exec_lo, exec_lo, s0
.LBB0_159:
	s_delay_alu instid0(SALU_CYCLE_1)
	s_or_b32 exec_lo, exec_lo, s1
                                        ; implicit-def: $vgpr10_vgpr11
.LBB0_160:
	s_and_not1_saveexec_b32 s0, vcc_hi
	s_cbranch_execz .LBB0_298
; %bb.161:
	v_add_f64 v[34:35], v[10:11], -4.0
	s_mov_b32 s1, exec_lo
                                        ; implicit-def: $vgpr14_vgpr15
                                        ; implicit-def: $vgpr26_vgpr27
                                        ; implicit-def: $vgpr2_vgpr3
                                        ; implicit-def: $vgpr6_vgpr7
                                        ; implicit-def: $vgpr4_vgpr5
                                        ; implicit-def: $vgpr0_vgpr1
	v_cmpx_lt_i32_e32 0, v107
	s_xor_b32 s1, exec_lo, s1
	s_cbranch_execz .LBB0_169
; %bb.162:
	s_mov_b32 s2, exec_lo
                                        ; implicit-def: $vgpr14_vgpr15
                                        ; implicit-def: $vgpr26_vgpr27
                                        ; implicit-def: $vgpr2_vgpr3
                                        ; implicit-def: $vgpr6_vgpr7
                                        ; implicit-def: $vgpr4_vgpr5
                                        ; implicit-def: $vgpr0_vgpr1
	v_cmpx_lt_i32_e32 1, v107
	s_xor_b32 s2, exec_lo, s2
	s_cbranch_execz .LBB0_166
; %bb.163:
	v_mov_b32_e32 v14, 0
	v_mov_b32_e32 v15, 0
	s_delay_alu instid0(VALU_DEP_2) | instskip(SKIP_2) | instid1(VALU_DEP_4)
	v_mov_b32_e32 v2, v14
	v_mov_b32_e32 v6, v14
	;; [unrolled: 1-line block ×3, first 2 shown]
	v_dual_mov_b32 v0, v14 :: v_dual_mov_b32 v1, v15
	v_dual_mov_b32 v27, v15 :: v_dual_mov_b32 v26, v14
	v_mov_b32_e32 v3, v15
	v_mov_b32_e32 v7, v15
	;; [unrolled: 1-line block ×3, first 2 shown]
	s_mov_b32 s3, exec_lo
	v_cmpx_eq_u32_e32 2, v107
	s_cbranch_execz .LBB0_165
; %bb.164:
	s_mov_b32 s4, 0x68302304
	s_mov_b32 s6, 0xfb34e0d3
	;; [unrolled: 1-line block ×4, first 2 shown]
	v_cmp_nlt_f64_e32 vcc_lo, 0x4090cc00, v[10:11]
	v_fma_f64 v[0:1], v[34:35], s[6:7], s[4:5]
	s_mov_b32 s4, 0xfad6a4de
	s_mov_b32 s5, 0x3e406d2a
	;; [unrolled: 1-line block ×4, first 2 shown]
	s_delay_alu instid0(VALU_DEP_1)
	v_fma_f64 v[0:1], v[34:35], v[0:1], s[4:5]
	s_mov_b32 s4, 0xae32011a
	s_mov_b32 s5, 0xbe80820a
	s_delay_alu instid0(VALU_DEP_1) | instid1(SALU_CYCLE_1)
	v_fma_f64 v[0:1], v[34:35], v[0:1], s[4:5]
	s_mov_b32 s4, 0x74ee91c2
	s_mov_b32 s5, 0x3ec0fece
	s_delay_alu instid0(VALU_DEP_1) | instid1(SALU_CYCLE_1)
	v_fma_f64 v[0:1], v[34:35], v[0:1], s[4:5]
	s_mov_b32 s4, 0x735238d8
	s_mov_b32 s5, 0xbefe1967
	s_delay_alu instid0(VALU_DEP_1) | instid1(SALU_CYCLE_1)
	v_fma_f64 v[0:1], v[34:35], v[0:1], s[4:5]
	s_mov_b32 s4, 0x1683fb1e
	s_mov_b32 s5, 0x3f38450e
	s_delay_alu instid0(VALU_DEP_1) | instid1(SALU_CYCLE_1)
	v_fma_f64 v[0:1], v[34:35], v[0:1], s[4:5]
	s_mov_b32 s4, 0x4e40d91f
	s_mov_b32 s5, 0xbf713e92
	s_delay_alu instid0(VALU_DEP_1) | instid1(SALU_CYCLE_1)
	v_fma_f64 v[0:1], v[34:35], v[0:1], s[4:5]
	s_mov_b32 s4, 0xe333147e
	s_mov_b32 s5, 0x3fa1f74b
	s_delay_alu instid0(VALU_DEP_1) | instid1(SALU_CYCLE_1)
	v_fma_f64 v[0:1], v[34:35], v[0:1], s[4:5]
	s_mov_b32 s4, 0x94184e10
	s_mov_b32 s5, 0x3deb26a3
	s_delay_alu instid0(SALU_CYCLE_1) | instskip(SKIP_4) | instid1(VALU_DEP_1)
	v_fma_f64 v[2:3], v[34:35], s[6:7], s[4:5]
	s_mov_b32 s4, 0x62360679
	s_mov_b32 s5, 0x3e228d41
	s_mov_b32 s6, 0xeec8a0c9
	s_mov_b32 s7, 0xbdfafecd
	v_fma_f64 v[2:3], v[34:35], v[2:3], s[4:5]
	s_mov_b32 s4, 0x2720acbd
	s_mov_b32 s5, 0xbe755783
	s_delay_alu instid0(VALU_DEP_1) | instid1(SALU_CYCLE_1)
	v_fma_f64 v[2:3], v[34:35], v[2:3], s[4:5]
	s_mov_b32 s4, 0x2aa8aaa2
	s_mov_b32 s5, 0x3ea14801
	s_delay_alu instid0(VALU_DEP_1) | instid1(SALU_CYCLE_1)
	v_fma_f64 v[2:3], v[34:35], v[2:3], s[4:5]
	s_mov_b32 s4, 0x6e3cb6b6
	s_mov_b32 s5, 0x3ee7719c
	s_delay_alu instid0(VALU_DEP_1) | instid1(SALU_CYCLE_1)
	v_fma_f64 v[2:3], v[34:35], v[2:3], s[4:5]
	s_mov_b32 s4, 0x6eda89a4
	s_mov_b32 s5, 0xbf35df37
	s_delay_alu instid0(VALU_DEP_1) | instid1(SALU_CYCLE_1)
	v_fma_f64 v[2:3], v[34:35], v[2:3], s[4:5]
	s_mov_b32 s4, 0x5d04be24
	s_mov_b32 s5, 0x3f75bbc2
	s_delay_alu instid0(VALU_DEP_1) | instid1(SALU_CYCLE_1)
	v_fma_f64 v[2:3], v[34:35], v[2:3], s[4:5]
	s_mov_b32 s4, 0x64ba8ada
	s_mov_b32 s5, 0xbfae62e7
	s_delay_alu instid0(VALU_DEP_1) | instid1(SALU_CYCLE_1)
	v_fma_f64 v[2:3], v[34:35], v[2:3], s[4:5]
	s_mov_b32 s4, 0x3184cb0f
	s_mov_b32 s5, 0x3fdb9876
	s_delay_alu instid0(VALU_DEP_1) | instid1(SALU_CYCLE_1)
	v_fma_f64 v[4:5], v[34:35], v[2:3], s[4:5]
	s_mov_b32 s4, 0x306569a3
	s_mov_b32 s5, 0xbe31e29f
	s_delay_alu instid0(SALU_CYCLE_1) | instskip(SKIP_4) | instid1(VALU_DEP_1)
	v_fma_f64 v[2:3], v[34:35], s[6:7], s[4:5]
	s_mov_b32 s4, 0x8008685d
	s_mov_b32 s5, 0x3e67c07a
	s_mov_b32 s6, 0xecc42bc2
	s_mov_b32 s7, 0xbdba0902
	v_fma_f64 v[2:3], v[34:35], v[2:3], s[4:5]
	s_mov_b32 s4, 0x52d3e3e0
	s_mov_b32 s5, 0x3ea57e7e
	s_delay_alu instid0(VALU_DEP_1) | instid1(SALU_CYCLE_1)
	;; [unrolled: 37-line block ×3, first 2 shown]
	v_fma_f64 v[2:3], v[34:35], v[2:3], s[4:5]
	s_mov_b32 s4, 0xf90ee24
	s_mov_b32 s5, 0xbe9430f9
	s_delay_alu instid0(VALU_DEP_1) | instid1(SALU_CYCLE_1)
	v_fma_f64 v[2:3], v[34:35], v[2:3], s[4:5]
	s_mov_b32 s4, 0xf951d32b
	s_mov_b32 s5, 0x3ec4ddd8
	s_delay_alu instid0(VALU_DEP_1) | instid1(SALU_CYCLE_1)
	;; [unrolled: 4-line block ×8, first 2 shown]
	v_fma_f64 v[2:3], v[34:35], v[2:3], s[4:5]
	s_mov_b32 s4, 0x652b82fe
	s_mov_b32 s5, 0xbff71547
	s_delay_alu instid0(SALU_CYCLE_1) | instskip(SKIP_2) | instid1(VALU_DEP_1)
	v_mul_f64 v[14:15], v[10:11], s[4:5]
	s_mov_b32 s4, 0xfefa39ef
	s_mov_b32 s5, 0xbfe62e42
	v_rndne_f64_e32 v[14:15], v[14:15]
	s_delay_alu instid0(VALU_DEP_1) | instskip(SKIP_3) | instid1(VALU_DEP_2)
	v_fma_f64 v[26:27], v[14:15], s[4:5], -v[10:11]
	s_mov_b32 s4, 0x3b39803f
	s_mov_b32 s5, 0xbc7abc9e
	v_add_f64 v[10:11], v[10:11], v[10:11]
	v_fma_f64 v[26:27], v[14:15], s[4:5], v[26:27]
	s_mov_b32 s4, 0xfca7ab0c
	s_mov_b32 s5, 0x3e928af3
	v_cvt_i32_f64_e32 v14, v[14:15]
	s_delay_alu instid0(VALU_DEP_2)
	v_fma_f64 v[34:35], v[26:27], s[6:7], s[4:5]
	s_mov_b32 s4, 0x623fde64
	s_mov_b32 s5, 0x3ec71dee
	s_delay_alu instid0(VALU_DEP_1) | instid1(SALU_CYCLE_1)
	v_fma_f64 v[34:35], v[26:27], v[34:35], s[4:5]
	s_mov_b32 s4, 0x7c89e6b0
	s_mov_b32 s5, 0x3efa0199
	s_delay_alu instid0(VALU_DEP_1) | instid1(SALU_CYCLE_1)
	;; [unrolled: 4-line block ×8, first 2 shown]
	v_fma_f64 v[34:35], v[26:27], v[34:35], s[4:5]
	s_delay_alu instid0(VALU_DEP_1) | instskip(NEXT) | instid1(VALU_DEP_1)
	v_fma_f64 v[34:35], v[26:27], v[34:35], 1.0
	v_fma_f64 v[26:27], v[26:27], v[34:35], 1.0
	s_delay_alu instid0(VALU_DEP_1) | instskip(NEXT) | instid1(VALU_DEP_1)
	v_ldexp_f64 v[14:15], v[26:27], v14
	v_dual_cndmask_b32 v15, 0, v15 :: v_dual_cndmask_b32 v14, 0, v14
	s_delay_alu instid0(VALU_DEP_1) | instskip(NEXT) | instid1(VALU_DEP_1)
	v_fma_f64 v[26:27], v[10:11], v[2:3], v[14:15]
	v_div_scale_f64 v[34:35], null, 0x40080000, 0x40080000, v[26:27]
	s_delay_alu instid0(VALU_DEP_1) | instskip(SKIP_2) | instid1(VALU_DEP_1)
	v_rcp_f64_e32 v[48:49], v[34:35]
	s_waitcnt_depctr 0xfff
	v_fma_f64 v[50:51], -v[34:35], v[48:49], 1.0
	v_fma_f64 v[48:49], v[48:49], v[50:51], v[48:49]
	s_delay_alu instid0(VALU_DEP_1) | instskip(NEXT) | instid1(VALU_DEP_1)
	v_fma_f64 v[50:51], -v[34:35], v[48:49], 1.0
	v_fma_f64 v[48:49], v[48:49], v[50:51], v[48:49]
	v_div_scale_f64 v[50:51], vcc_lo, v[26:27], 0x40080000, v[26:27]
	s_delay_alu instid0(VALU_DEP_1) | instskip(NEXT) | instid1(VALU_DEP_1)
	v_mul_f64 v[52:53], v[50:51], v[48:49]
	v_fma_f64 v[34:35], -v[34:35], v[52:53], v[50:51]
	s_delay_alu instid0(VALU_DEP_1) | instskip(NEXT) | instid1(VALU_DEP_1)
	v_div_fmas_f64 v[34:35], v[34:35], v[48:49], v[52:53]
	v_div_fixup_f64 v[26:27], v[34:35], 0x40080000, v[26:27]
	s_delay_alu instid0(VALU_DEP_1) | instskip(SKIP_1) | instid1(VALU_DEP_1)
	v_fma_f64 v[10:11], v[10:11], v[26:27], v[14:15]
	v_add_f64 v[14:15], v[0:1], 1.0
	v_div_scale_f64 v[34:35], null, v[14:15], v[14:15], v[0:1]
	s_delay_alu instid0(VALU_DEP_1) | instskip(SKIP_2) | instid1(VALU_DEP_1)
	v_rcp_f64_e32 v[48:49], v[34:35]
	s_waitcnt_depctr 0xfff
	v_fma_f64 v[50:51], -v[34:35], v[48:49], 1.0
	v_fma_f64 v[48:49], v[48:49], v[50:51], v[48:49]
	s_delay_alu instid0(VALU_DEP_1) | instskip(NEXT) | instid1(VALU_DEP_1)
	v_fma_f64 v[50:51], -v[34:35], v[48:49], 1.0
	v_fma_f64 v[48:49], v[48:49], v[50:51], v[48:49]
	v_div_scale_f64 v[50:51], vcc_lo, v[0:1], v[14:15], v[0:1]
	s_delay_alu instid0(VALU_DEP_1) | instskip(NEXT) | instid1(VALU_DEP_1)
	v_mul_f64 v[52:53], v[50:51], v[48:49]
	v_fma_f64 v[34:35], -v[34:35], v[52:53], v[50:51]
	s_delay_alu instid0(VALU_DEP_1) | instskip(NEXT) | instid1(VALU_DEP_1)
	v_div_fmas_f64 v[34:35], v[34:35], v[48:49], v[52:53]
	v_div_fixup_f64 v[34:35], v[34:35], v[14:15], v[0:1]
	v_add_f64 v[14:15], v[4:5], 1.0
	s_delay_alu instid0(VALU_DEP_2) | instskip(NEXT) | instid1(VALU_DEP_2)
	v_fma_f64 v[2:3], -v[34:35], v[26:27], v[2:3]
	v_div_scale_f64 v[48:49], null, v[14:15], v[14:15], v[4:5]
	v_fma_f64 v[26:27], -v[34:35], v[10:11], v[26:27]
	s_delay_alu instid0(VALU_DEP_2) | instskip(SKIP_2) | instid1(VALU_DEP_1)
	v_rcp_f64_e32 v[50:51], v[48:49]
	s_waitcnt_depctr 0xfff
	v_fma_f64 v[52:53], -v[48:49], v[50:51], 1.0
	v_fma_f64 v[50:51], v[50:51], v[52:53], v[50:51]
	s_delay_alu instid0(VALU_DEP_1) | instskip(NEXT) | instid1(VALU_DEP_1)
	v_fma_f64 v[52:53], -v[48:49], v[50:51], 1.0
	v_fma_f64 v[50:51], v[50:51], v[52:53], v[50:51]
	v_div_scale_f64 v[52:53], vcc_lo, v[4:5], v[14:15], v[4:5]
	s_delay_alu instid0(VALU_DEP_1) | instskip(NEXT) | instid1(VALU_DEP_1)
	v_mul_f64 v[54:55], v[52:53], v[50:51]
	v_fma_f64 v[48:49], -v[48:49], v[54:55], v[52:53]
	s_delay_alu instid0(VALU_DEP_1) | instskip(NEXT) | instid1(VALU_DEP_1)
	v_div_fmas_f64 v[48:49], v[48:49], v[50:51], v[54:55]
	v_div_fixup_f64 v[48:49], v[48:49], v[14:15], v[4:5]
	v_add_f64 v[14:15], v[6:7], 1.0
	s_delay_alu instid0(VALU_DEP_1) | instskip(NEXT) | instid1(VALU_DEP_1)
	v_div_scale_f64 v[50:51], null, v[14:15], v[14:15], v[6:7]
	v_rcp_f64_e32 v[52:53], v[50:51]
	s_waitcnt_depctr 0xfff
	v_fma_f64 v[54:55], -v[50:51], v[52:53], 1.0
	s_delay_alu instid0(VALU_DEP_1) | instskip(NEXT) | instid1(VALU_DEP_1)
	v_fma_f64 v[52:53], v[52:53], v[54:55], v[52:53]
	v_fma_f64 v[54:55], -v[50:51], v[52:53], 1.0
	s_delay_alu instid0(VALU_DEP_1) | instskip(SKIP_1) | instid1(VALU_DEP_1)
	v_fma_f64 v[52:53], v[52:53], v[54:55], v[52:53]
	v_div_scale_f64 v[54:55], vcc_lo, v[6:7], v[14:15], v[6:7]
	v_mul_f64 v[113:114], v[54:55], v[52:53]
	s_delay_alu instid0(VALU_DEP_1) | instskip(NEXT) | instid1(VALU_DEP_1)
	v_fma_f64 v[50:51], -v[50:51], v[113:114], v[54:55]
	v_div_fmas_f64 v[50:51], v[50:51], v[52:53], v[113:114]
	s_delay_alu instid0(VALU_DEP_1) | instskip(SKIP_1) | instid1(VALU_DEP_2)
	v_div_fixup_f64 v[50:51], v[50:51], v[14:15], v[6:7]
	v_fma_f64 v[14:15], -v[48:49], v[26:27], v[2:3]
	v_add_f64 v[52:53], v[50:51], -v[48:49]
	v_add_f64 v[54:55], v[50:51], -v[34:35]
	v_fma_f64 v[2:3], v[50:51], v[26:27], -v[2:3]
	v_add_f64 v[26:27], v[48:49], -v[34:35]
	s_delay_alu instid0(VALU_DEP_3) | instskip(NEXT) | instid1(VALU_DEP_2)
	v_mul_f64 v[54:55], v[52:53], v[54:55]
	v_mul_f64 v[26:27], v[52:53], v[26:27]
	s_delay_alu instid0(VALU_DEP_2) | instskip(NEXT) | instid1(VALU_DEP_2)
	v_div_scale_f64 v[113:114], null, v[54:55], v[54:55], v[14:15]
	v_div_scale_f64 v[34:35], null, v[26:27], v[26:27], v[2:3]
	s_delay_alu instid0(VALU_DEP_2) | instskip(NEXT) | instid1(VALU_DEP_1)
	v_rcp_f64_e32 v[115:116], v[113:114]
	v_rcp_f64_e32 v[48:49], v[34:35]
	s_waitcnt_depctr 0xfff
	v_fma_f64 v[117:118], -v[113:114], v[115:116], 1.0
	v_fma_f64 v[50:51], -v[34:35], v[48:49], 1.0
	s_delay_alu instid0(VALU_DEP_2) | instskip(NEXT) | instid1(VALU_DEP_2)
	v_fma_f64 v[115:116], v[115:116], v[117:118], v[115:116]
	v_fma_f64 v[48:49], v[48:49], v[50:51], v[48:49]
	s_delay_alu instid0(VALU_DEP_2) | instskip(NEXT) | instid1(VALU_DEP_2)
	v_fma_f64 v[117:118], -v[113:114], v[115:116], 1.0
	v_fma_f64 v[50:51], -v[34:35], v[48:49], 1.0
	s_delay_alu instid0(VALU_DEP_2) | instskip(SKIP_1) | instid1(VALU_DEP_3)
	v_fma_f64 v[115:116], v[115:116], v[117:118], v[115:116]
	v_div_scale_f64 v[117:118], vcc_lo, v[14:15], v[54:55], v[14:15]
	v_fma_f64 v[48:49], v[48:49], v[50:51], v[48:49]
	s_delay_alu instid0(VALU_DEP_2) | instskip(NEXT) | instid1(VALU_DEP_1)
	v_mul_f64 v[128:129], v[117:118], v[115:116]
	v_fma_f64 v[113:114], -v[113:114], v[128:129], v[117:118]
	s_delay_alu instid0(VALU_DEP_1) | instskip(SKIP_1) | instid1(VALU_DEP_2)
	v_div_fmas_f64 v[113:114], v[113:114], v[115:116], v[128:129]
	v_div_scale_f64 v[50:51], vcc_lo, v[2:3], v[26:27], v[2:3]
	v_div_fixup_f64 v[14:15], v[113:114], v[54:55], v[14:15]
	s_delay_alu instid0(VALU_DEP_2) | instskip(NEXT) | instid1(VALU_DEP_1)
	v_mul_f64 v[52:53], v[50:51], v[48:49]
	v_fma_f64 v[34:35], -v[34:35], v[52:53], v[50:51]
	s_delay_alu instid0(VALU_DEP_1) | instskip(NEXT) | instid1(VALU_DEP_1)
	v_div_fmas_f64 v[34:35], v[34:35], v[48:49], v[52:53]
	v_div_fixup_f64 v[26:27], v[34:35], v[26:27], v[2:3]
	s_delay_alu instid0(VALU_DEP_1) | instskip(NEXT) | instid1(VALU_DEP_1)
	v_add_f64 v[2:3], v[10:11], -v[26:27]
	v_add_f64 v[2:3], v[2:3], -v[14:15]
.LBB0_165:
	s_or_b32 exec_lo, exec_lo, s3
                                        ; implicit-def: $vgpr34_vgpr35
                                        ; implicit-def: $vgpr10_vgpr11
.LBB0_166:
	s_and_not1_saveexec_b32 s2, s2
	s_cbranch_execz .LBB0_168
; %bb.167:
	s_mov_b32 s4, 0x652b82fe
	s_mov_b32 s5, 0xbff71547
	;; [unrolled: 1-line block ×3, first 2 shown]
	v_mul_f64 v[0:1], v[10:11], s[4:5]
	s_mov_b32 s4, 0xfefa39ef
	s_mov_b32 s5, 0xbfe62e42
	;; [unrolled: 1-line block ×7, first 2 shown]
	v_cmp_nlt_f64_e32 vcc_lo, 0x4090cc00, v[10:11]
	s_delay_alu instid0(VALU_DEP_2) | instskip(NEXT) | instid1(VALU_DEP_1)
	v_rndne_f64_e32 v[0:1], v[0:1]
	v_fma_f64 v[2:3], v[0:1], s[4:5], -v[10:11]
	s_mov_b32 s4, 0x3b39803f
	s_mov_b32 s5, 0xbc7abc9e
	v_cvt_i32_f64_e32 v48, v[0:1]
	s_delay_alu instid0(VALU_DEP_2)
	v_fma_f64 v[2:3], v[0:1], s[4:5], v[2:3]
	s_mov_b32 s4, 0xfca7ab0c
	s_mov_b32 s5, 0x3e928af3
	s_delay_alu instid0(VALU_DEP_1) | instid1(SALU_CYCLE_1)
	v_fma_f64 v[4:5], v[2:3], s[6:7], s[4:5]
	s_mov_b32 s4, 0x623fde64
	s_mov_b32 s5, 0x3ec71dee
	s_mov_b32 s6, 0x3e0f0946
	s_mov_b32 s7, 0xbdbcdb69
	s_delay_alu instid0(VALU_DEP_1) | instskip(SKIP_2) | instid1(SALU_CYCLE_1)
	v_fma_f64 v[4:5], v[2:3], v[4:5], s[4:5]
	s_mov_b32 s4, 0x140c5ae4
	s_mov_b32 s5, 0x3df6446a
	v_fma_f64 v[6:7], v[34:35], s[6:7], s[4:5]
	s_mov_b32 s4, 0x7c89e6b0
	s_mov_b32 s5, 0x3efa0199
	;; [unrolled: 1-line block ×4, first 2 shown]
	s_delay_alu instid0(VALU_DEP_2)
	v_fma_f64 v[4:5], v[2:3], v[4:5], s[4:5]
	s_mov_b32 s4, 0xbf6cfa0d
	s_mov_b32 s5, 0xbe2f0d64
	s_delay_alu instid0(VALU_DEP_2) | instid1(SALU_CYCLE_1)
	v_fma_f64 v[6:7], v[34:35], v[6:7], s[4:5]
	s_mov_b32 s4, 0x14761f6e
	s_mov_b32 s5, 0x3f2a01a0
	s_delay_alu instid0(VALU_DEP_2) | instid1(SALU_CYCLE_1)
	;; [unrolled: 4-line block ×4, first 2 shown]
	v_fma_f64 v[4:5], v[2:3], v[4:5], s[4:5]
	s_mov_b32 s4, 0x4cd1b45e
	s_mov_b32 s5, 0x3e02b1b6
	s_delay_alu instid0(SALU_CYCLE_1) | instskip(NEXT) | instid1(VALU_DEP_3)
	v_fma_f64 v[14:15], v[34:35], s[6:7], s[4:5]
	v_fma_f64 v[6:7], v[34:35], v[6:7], s[8:9]
	s_mov_b32 s6, 0x11122322
	s_mov_b32 s7, 0x3f811111
	;; [unrolled: 1-line block ×6, first 2 shown]
	s_delay_alu instid0(VALU_DEP_3) | instskip(SKIP_2) | instid1(SALU_CYCLE_1)
	v_fma_f64 v[4:5], v[2:3], v[4:5], s[6:7]
	s_mov_b32 s6, 0x465450e5
	s_mov_b32 s7, 0xbd9219c1
	v_fma_f64 v[26:27], v[34:35], s[6:7], s[8:9]
	s_delay_alu instid0(VALU_DEP_4) | instskip(NEXT) | instid1(VALU_DEP_4)
	v_fma_f64 v[14:15], v[34:35], v[14:15], s[16:17]
	v_fma_f64 v[6:7], v[34:35], v[6:7], s[4:5]
	s_mov_b32 s4, 0x555502a1
	s_mov_b32 s5, 0x3fa55555
	s_mov_b32 s6, 0x919cc3e
	s_mov_b32 s8, 0xab4df8c8
	s_mov_b32 s7, 0xbef80370
	s_mov_b32 s9, 0xbe841b0a
	s_delay_alu instid0(VALU_DEP_4)
	v_fma_f64 v[4:5], v[2:3], v[4:5], s[4:5]
	s_mov_b32 s4, 0x1eb95e12
	s_mov_b32 s5, 0xbe1dcf00
	s_delay_alu instid0(VALU_DEP_4) | instid1(SALU_CYCLE_1)
	v_fma_f64 v[26:27], v[34:35], v[26:27], s[4:5]
	s_delay_alu instid0(VALU_DEP_4) | instskip(NEXT) | instid1(VALU_DEP_4)
	v_fma_f64 v[14:15], v[34:35], v[14:15], s[8:9]
	v_fma_f64 v[6:7], v[34:35], v[6:7], s[6:7]
	s_mov_b32 s4, 0x55555511
	s_mov_b32 s5, 0x3fc55555
	s_mov_b32 s6, 0xb1c0ea5b
	s_mov_b32 s8, 0x2cdc5241
	s_mov_b32 s7, 0x3f240235
	s_mov_b32 s9, 0xbea78b8f
	s_delay_alu instid0(VALU_DEP_4)
	v_fma_f64 v[4:5], v[2:3], v[4:5], s[4:5]
	s_mov_b32 s4, 0x7ea1467b
	s_mov_b32 s5, 0x3e6fd70c
	s_delay_alu instid0(VALU_DEP_4) | instid1(SALU_CYCLE_1)
	;; [unrolled: 15-line block ×3, first 2 shown]
	v_fma_f64 v[26:27], v[34:35], v[26:27], s[4:5]
	s_delay_alu instid0(VALU_DEP_4) | instskip(NEXT) | instid1(VALU_DEP_4)
	v_fma_f64 v[14:15], v[34:35], v[14:15], s[8:9]
	v_fma_f64 v[6:7], v[34:35], v[6:7], s[6:7]
	s_mov_b32 s4, 0xbc15cf63
	s_mov_b32 s6, 0x69af8ea
	;; [unrolled: 1-line block ×6, first 2 shown]
	s_delay_alu instid0(VALU_DEP_4) | instskip(NEXT) | instid1(VALU_DEP_4)
	v_fma_f64 v[4:5], v[2:3], v[4:5], 1.0
	v_fma_f64 v[26:27], v[34:35], v[26:27], s[6:7]
	s_delay_alu instid0(VALU_DEP_4) | instskip(NEXT) | instid1(VALU_DEP_4)
	v_fma_f64 v[14:15], v[34:35], v[14:15], s[8:9]
	v_fma_f64 v[6:7], v[34:35], v[6:7], s[4:5]
	s_mov_b32 s4, 0x54e3eb97
	s_mov_b32 s6, 0xcb6ef280
	;; [unrolled: 1-line block ×6, first 2 shown]
	s_delay_alu instid0(VALU_DEP_4) | instskip(NEXT) | instid1(VALU_DEP_4)
	v_fma_f64 v[0:1], v[2:3], v[4:5], 1.0
	v_fma_f64 v[2:3], v[34:35], v[26:27], s[6:7]
	s_delay_alu instid0(VALU_DEP_4) | instskip(NEXT) | instid1(VALU_DEP_4)
	v_fma_f64 v[4:5], v[34:35], v[14:15], s[8:9]
	v_fma_f64 v[6:7], v[34:35], v[6:7], s[4:5]
	s_mov_b32 s4, 0x65356efd
	s_mov_b32 s6, 0x1e993e4b
	s_mov_b32 s8, 0x972bc943
	s_mov_b32 s5, 0x3fab0ded
	s_mov_b32 s7, 0x3f530a3d
	s_mov_b32 s9, 0x3fa24161
	v_add_f64 v[14:15], v[10:11], v[10:11]
	v_ldexp_f64 v[0:1], v[0:1], v48
	v_fma_f64 v[2:3], v[34:35], v[2:3], s[6:7]
	v_fma_f64 v[4:5], v[34:35], v[4:5], s[8:9]
	;; [unrolled: 1-line block ×3, first 2 shown]
	s_mov_b32 s4, 0xdad9d723
	s_mov_b32 s6, 0xd1130a9b
	;; [unrolled: 1-line block ×4, first 2 shown]
	s_delay_alu instid0(VALU_DEP_4) | instskip(NEXT) | instid1(VALU_DEP_4)
	v_dual_cndmask_b32 v1, 0, v1 :: v_dual_cndmask_b32 v0, 0, v0
	v_fma_f64 v[2:3], v[34:35], v[2:3], s[4:5]
	s_delay_alu instid0(VALU_DEP_4) | instskip(NEXT) | instid1(VALU_DEP_3)
	v_fma_f64 v[4:5], v[34:35], v[4:5], s[6:7]
	v_fma_f64 v[10:11], v[14:15], v[6:7], v[0:1]
	s_mov_b32 s4, 0xf26810e2
	s_mov_b32 s6, 0x61a3cbac
	;; [unrolled: 1-line block ×4, first 2 shown]
	s_delay_alu instid0(VALU_DEP_3) | instskip(NEXT) | instid1(VALU_DEP_3)
	v_fma_f64 v[0:1], v[34:35], v[2:3], s[4:5]
	v_fma_f64 v[4:5], v[34:35], v[4:5], s[6:7]
	s_delay_alu instid0(VALU_DEP_3) | instskip(NEXT) | instid1(VALU_DEP_2)
	v_add_f64 v[2:3], v[6:7], -v[10:11]
	v_add_f64 v[14:15], v[4:5], 1.0
	s_delay_alu instid0(VALU_DEP_2) | instskip(SKIP_1) | instid1(VALU_DEP_2)
	v_fma_f64 v[2:3], v[0:1], v[2:3], v[6:7]
	v_add_f64 v[6:7], v[4:5], -v[0:1]
	v_mul_f64 v[2:3], v[14:15], v[2:3]
	s_delay_alu instid0(VALU_DEP_1) | instskip(NEXT) | instid1(VALU_DEP_1)
	v_div_scale_f64 v[14:15], null, v[6:7], v[6:7], v[2:3]
	v_rcp_f64_e32 v[26:27], v[14:15]
	s_waitcnt_depctr 0xfff
	v_fma_f64 v[34:35], -v[14:15], v[26:27], 1.0
	s_delay_alu instid0(VALU_DEP_1) | instskip(NEXT) | instid1(VALU_DEP_1)
	v_fma_f64 v[26:27], v[26:27], v[34:35], v[26:27]
	v_fma_f64 v[34:35], -v[14:15], v[26:27], 1.0
	s_delay_alu instid0(VALU_DEP_1) | instskip(SKIP_1) | instid1(VALU_DEP_1)
	v_fma_f64 v[26:27], v[26:27], v[34:35], v[26:27]
	v_div_scale_f64 v[34:35], vcc_lo, v[2:3], v[6:7], v[2:3]
	v_mul_f64 v[48:49], v[34:35], v[26:27]
	s_delay_alu instid0(VALU_DEP_1) | instskip(NEXT) | instid1(VALU_DEP_1)
	v_fma_f64 v[14:15], -v[14:15], v[48:49], v[34:35]
	v_div_fmas_f64 v[14:15], v[14:15], v[26:27], v[48:49]
	s_delay_alu instid0(VALU_DEP_1) | instskip(SKIP_2) | instid1(VALU_DEP_1)
	v_div_fixup_f64 v[26:27], v[14:15], v[6:7], v[2:3]
	v_mov_b32_e32 v14, 0
	v_mov_b32_e32 v15, 0
	v_dual_mov_b32 v6, v14 :: v_dual_mov_b32 v7, v15
	s_delay_alu instid0(VALU_DEP_4)
	v_add_f64 v[2:3], v[10:11], -v[26:27]
.LBB0_168:
	s_or_b32 exec_lo, exec_lo, s2
                                        ; implicit-def: $vgpr34_vgpr35
                                        ; implicit-def: $vgpr10_vgpr11
.LBB0_169:
	s_and_not1_saveexec_b32 s1, s1
	s_cbranch_execz .LBB0_173
; %bb.170:
	v_mov_b32_e32 v14, 0
	v_mov_b32_e32 v15, 0
	s_delay_alu instid0(VALU_DEP_2) | instskip(SKIP_2) | instid1(VALU_DEP_3)
	v_mov_b32_e32 v2, v14
	v_mov_b32_e32 v0, v14
	s_mov_b32 s2, exec_lo
	v_mov_b32_e32 v1, v15
	v_mov_b32_e32 v3, v15
	v_cmpx_eq_u32_e32 0, v107
	s_cbranch_execz .LBB0_172
; %bb.171:
	s_mov_b32 s4, 0x652b82fe
	s_mov_b32 s5, 0xbff71547
	;; [unrolled: 1-line block ×3, first 2 shown]
	v_mul_f64 v[0:1], v[10:11], s[4:5]
	s_mov_b32 s4, 0xfefa39ef
	s_mov_b32 s5, 0xbfe62e42
	;; [unrolled: 1-line block ×3, first 2 shown]
	v_cmp_nlt_f64_e32 vcc_lo, 0x4090cc00, v[10:11]
	s_delay_alu instid0(VALU_DEP_2) | instskip(NEXT) | instid1(VALU_DEP_1)
	v_rndne_f64_e32 v[0:1], v[0:1]
	v_fma_f64 v[2:3], v[0:1], s[4:5], -v[10:11]
	s_mov_b32 s4, 0x3b39803f
	s_mov_b32 s5, 0xbc7abc9e
	v_cvt_i32_f64_e32 v26, v[0:1]
	s_delay_alu instid0(VALU_DEP_2)
	v_fma_f64 v[2:3], v[0:1], s[4:5], v[2:3]
	s_mov_b32 s4, 0xfca7ab0c
	s_mov_b32 s5, 0x3e928af3
	s_delay_alu instid0(VALU_DEP_1) | instid1(SALU_CYCLE_1)
	v_fma_f64 v[4:5], v[2:3], s[6:7], s[4:5]
	s_mov_b32 s4, 0x623fde64
	s_mov_b32 s5, 0x3ec71dee
	;; [unrolled: 1-line block ×4, first 2 shown]
	s_delay_alu instid0(VALU_DEP_1) | instskip(SKIP_2) | instid1(SALU_CYCLE_1)
	v_fma_f64 v[4:5], v[2:3], v[4:5], s[4:5]
	s_mov_b32 s4, 0x140c5ae4
	s_mov_b32 s5, 0x3df6446a
	v_fma_f64 v[6:7], v[34:35], s[6:7], s[4:5]
	s_mov_b32 s4, 0x7c89e6b0
	s_mov_b32 s5, 0x3efa0199
	s_delay_alu instid0(VALU_DEP_2) | instid1(SALU_CYCLE_1)
	v_fma_f64 v[4:5], v[2:3], v[4:5], s[4:5]
	s_mov_b32 s4, 0xbf6cfa0d
	s_mov_b32 s5, 0xbe2f0d64
	s_delay_alu instid0(VALU_DEP_2) | instid1(SALU_CYCLE_1)
	v_fma_f64 v[6:7], v[34:35], v[6:7], s[4:5]
	s_mov_b32 s4, 0x14761f6e
	s_mov_b32 s5, 0x3f2a01a0
	s_delay_alu instid0(VALU_DEP_2) | instid1(SALU_CYCLE_1)
	v_fma_f64 v[4:5], v[2:3], v[4:5], s[4:5]
	s_mov_b32 s4, 0xbe769d26
	s_mov_b32 s5, 0x3e64300e
	s_delay_alu instid0(VALU_DEP_2) | instid1(SALU_CYCLE_1)
	v_fma_f64 v[6:7], v[34:35], v[6:7], s[4:5]
	s_mov_b32 s4, 0x1852b7b0
	s_mov_b32 s5, 0x3f56c16c
	s_delay_alu instid0(VALU_DEP_2) | instid1(SALU_CYCLE_1)
	v_fma_f64 v[4:5], v[2:3], v[4:5], s[4:5]
	s_mov_b32 s4, 0x7a1bb26e
	s_mov_b32 s5, 0xbe97d8f7
	s_delay_alu instid0(VALU_DEP_2) | instid1(SALU_CYCLE_1)
	v_fma_f64 v[6:7], v[34:35], v[6:7], s[4:5]
	s_mov_b32 s4, 0x11122322
	s_mov_b32 s5, 0x3f811111
	s_delay_alu instid0(VALU_DEP_2) | instid1(SALU_CYCLE_1)
	v_fma_f64 v[4:5], v[2:3], v[4:5], s[4:5]
	s_mov_b32 s4, 0xfb25b7f4
	s_mov_b32 s5, 0x3ec95ae3
	s_delay_alu instid0(VALU_DEP_2) | instid1(SALU_CYCLE_1)
	v_fma_f64 v[6:7], v[34:35], v[6:7], s[4:5]
	s_mov_b32 s4, 0x555502a1
	s_mov_b32 s5, 0x3fa55555
	s_delay_alu instid0(VALU_DEP_2) | instid1(SALU_CYCLE_1)
	v_fma_f64 v[4:5], v[2:3], v[4:5], s[4:5]
	s_mov_b32 s4, 0x919cc3e
	s_mov_b32 s5, 0xbef80370
	s_delay_alu instid0(VALU_DEP_2) | instid1(SALU_CYCLE_1)
	v_fma_f64 v[6:7], v[34:35], v[6:7], s[4:5]
	s_mov_b32 s4, 0x55555511
	s_mov_b32 s5, 0x3fc55555
	s_delay_alu instid0(VALU_DEP_2) | instid1(SALU_CYCLE_1)
	v_fma_f64 v[4:5], v[2:3], v[4:5], s[4:5]
	s_mov_b32 s4, 0xb1c0ea5b
	s_mov_b32 s5, 0x3f240235
	s_delay_alu instid0(VALU_DEP_2) | instid1(SALU_CYCLE_1)
	v_fma_f64 v[6:7], v[34:35], v[6:7], s[4:5]
	s_mov_b32 s4, 11
	s_mov_b32 s5, 0x3fe00000
	s_delay_alu instid0(VALU_DEP_2) | instid1(SALU_CYCLE_1)
	v_fma_f64 v[4:5], v[2:3], v[4:5], s[4:5]
	s_mov_b32 s4, 0x9170f27f
	s_mov_b32 s5, 0xbf4ce64f
	s_delay_alu instid0(VALU_DEP_2) | instid1(SALU_CYCLE_1)
	v_fma_f64 v[6:7], v[34:35], v[6:7], s[4:5]
	s_mov_b32 s4, 0xbc15cf63
	s_mov_b32 s5, 0x3f71be83
	s_delay_alu instid0(VALU_DEP_2) | instskip(NEXT) | instid1(VALU_DEP_2)
	v_fma_f64 v[4:5], v[2:3], v[4:5], 1.0
	v_fma_f64 v[6:7], v[34:35], v[6:7], s[4:5]
	s_mov_b32 s4, 0x54e3eb97
	s_mov_b32 s5, 0xbf91f247
	s_delay_alu instid0(VALU_DEP_2) | instskip(SKIP_1) | instid1(VALU_DEP_3)
	v_fma_f64 v[0:1], v[2:3], v[4:5], 1.0
	v_add_f64 v[4:5], v[10:11], v[10:11]
	v_fma_f64 v[2:3], v[34:35], v[6:7], s[4:5]
	s_mov_b32 s4, 0x65356efd
	s_mov_b32 s5, 0x3fab0ded
	s_delay_alu instid0(VALU_DEP_3) | instskip(NEXT) | instid1(VALU_DEP_2)
	v_ldexp_f64 v[0:1], v[0:1], v26
	v_fma_f64 v[6:7], v[34:35], v[2:3], s[4:5]
	s_delay_alu instid0(VALU_DEP_2) | instskip(NEXT) | instid1(VALU_DEP_1)
	v_dual_cndmask_b32 v1, 0, v1 :: v_dual_cndmask_b32 v0, 0, v0
	v_fma_f64 v[2:3], v[4:5], v[6:7], v[0:1]
	s_delay_alu instid0(VALU_DEP_1) | instskip(NEXT) | instid1(VALU_DEP_1)
	v_add_f64 v[0:1], v[2:3], -v[6:7]
	v_div_scale_f64 v[4:5], null, v[0:1], v[0:1], v[6:7]
	s_delay_alu instid0(VALU_DEP_1) | instskip(SKIP_2) | instid1(VALU_DEP_1)
	v_rcp_f64_e32 v[10:11], v[4:5]
	s_waitcnt_depctr 0xfff
	v_fma_f64 v[26:27], -v[4:5], v[10:11], 1.0
	v_fma_f64 v[10:11], v[10:11], v[26:27], v[10:11]
	s_delay_alu instid0(VALU_DEP_1) | instskip(NEXT) | instid1(VALU_DEP_1)
	v_fma_f64 v[26:27], -v[4:5], v[10:11], 1.0
	v_fma_f64 v[10:11], v[10:11], v[26:27], v[10:11]
	v_div_scale_f64 v[26:27], vcc_lo, v[6:7], v[0:1], v[6:7]
	s_delay_alu instid0(VALU_DEP_1) | instskip(NEXT) | instid1(VALU_DEP_1)
	v_mul_f64 v[34:35], v[26:27], v[10:11]
	v_fma_f64 v[4:5], -v[4:5], v[34:35], v[26:27]
	s_delay_alu instid0(VALU_DEP_1) | instskip(NEXT) | instid1(VALU_DEP_1)
	v_div_fmas_f64 v[4:5], v[4:5], v[10:11], v[34:35]
	v_div_fixup_f64 v[0:1], v[4:5], v[0:1], v[6:7]
.LBB0_172:
	s_or_b32 exec_lo, exec_lo, s2
	v_dual_mov_b32 v27, v15 :: v_dual_mov_b32 v26, v14
	v_dual_mov_b32 v6, v14 :: v_dual_mov_b32 v7, v15
	;; [unrolled: 1-line block ×3, first 2 shown]
.LBB0_173:
	s_or_b32 exec_lo, exec_lo, s1
	s_delay_alu instid0(SALU_CYCLE_1)
	s_or_b32 exec_lo, exec_lo, s0
                                        ; implicit-def: $vgpr10_vgpr11
.LBB0_174:
	s_and_not1_saveexec_b32 s2, s13
	s_cbranch_execz .LBB0_299
.LBB0_175:
	v_add_f64 v[34:35], v[10:11], -2.0
                                        ; implicit-def: $vgpr14_vgpr15
                                        ; implicit-def: $vgpr26_vgpr27
                                        ; implicit-def: $vgpr2_vgpr3
                                        ; implicit-def: $vgpr6_vgpr7
                                        ; implicit-def: $vgpr4_vgpr5
                                        ; implicit-def: $vgpr0_vgpr1
	s_mov_b32 s0, exec_lo
	v_cmpx_lt_i32_e32 0, v107
	s_xor_b32 s3, exec_lo, s0
	s_cbranch_execz .LBB0_183
; %bb.176:
	s_mov_b32 s0, exec_lo
                                        ; implicit-def: $vgpr14_vgpr15
                                        ; implicit-def: $vgpr26_vgpr27
                                        ; implicit-def: $vgpr2_vgpr3
                                        ; implicit-def: $vgpr6_vgpr7
                                        ; implicit-def: $vgpr4_vgpr5
                                        ; implicit-def: $vgpr0_vgpr1
	v_cmpx_lt_i32_e32 1, v107
	s_xor_b32 s0, exec_lo, s0
	s_cbranch_execz .LBB0_180
; %bb.177:
	v_mov_b32_e32 v14, 0
	v_mov_b32_e32 v15, 0
	s_delay_alu instid0(VALU_DEP_2) | instskip(SKIP_2) | instid1(VALU_DEP_4)
	v_mov_b32_e32 v2, v14
	v_mov_b32_e32 v6, v14
	;; [unrolled: 1-line block ×3, first 2 shown]
	v_dual_mov_b32 v0, v14 :: v_dual_mov_b32 v1, v15
	v_dual_mov_b32 v27, v15 :: v_dual_mov_b32 v26, v14
	v_mov_b32_e32 v3, v15
	v_mov_b32_e32 v7, v15
	;; [unrolled: 1-line block ×3, first 2 shown]
	s_mov_b32 s1, exec_lo
	v_cmpx_eq_u32_e32 2, v107
	s_cbranch_execz .LBB0_179
; %bb.178:
	s_mov_b32 s4, 0x6e2875fe
	s_mov_b32 s6, 0xb73671b8
	;; [unrolled: 1-line block ×4, first 2 shown]
	v_cmp_nlt_f64_e32 vcc_lo, 0x4090cc00, v[10:11]
	v_fma_f64 v[0:1], v[34:35], s[6:7], s[4:5]
	s_mov_b32 s4, 0x26273604
	s_mov_b32 s5, 0xbe06824e
	;; [unrolled: 1-line block ×4, first 2 shown]
	s_delay_alu instid0(VALU_DEP_1)
	v_fma_f64 v[0:1], v[34:35], v[0:1], s[4:5]
	s_mov_b32 s4, 0xef7e01c8
	s_mov_b32 s5, 0x3e50d064
	s_delay_alu instid0(VALU_DEP_1) | instid1(SALU_CYCLE_1)
	v_fma_f64 v[0:1], v[34:35], v[0:1], s[4:5]
	s_mov_b32 s4, 0xd8933fe4
	s_mov_b32 s5, 0xbe9174de
	s_delay_alu instid0(VALU_DEP_1) | instid1(SALU_CYCLE_1)
	;; [unrolled: 4-line block ×7, first 2 shown]
	v_fma_f64 v[0:1], v[34:35], v[0:1], s[4:5]
	s_mov_b32 s4, 0x690fd1e2
	s_mov_b32 s5, 0xbe36fd7c
	s_delay_alu instid0(SALU_CYCLE_1) | instskip(SKIP_4) | instid1(VALU_DEP_1)
	v_fma_f64 v[2:3], v[34:35], s[6:7], s[4:5]
	s_mov_b32 s4, 0x2e3bd51f
	s_mov_b32 s5, 0xbe721b45
	;; [unrolled: 1-line block ×4, first 2 shown]
	v_fma_f64 v[2:3], v[34:35], v[2:3], s[4:5]
	s_mov_b32 s4, 0xbfaf5e9e
	s_mov_b32 s5, 0x3eb9349d
	s_delay_alu instid0(VALU_DEP_1) | instid1(SALU_CYCLE_1)
	v_fma_f64 v[2:3], v[34:35], v[2:3], s[4:5]
	s_mov_b32 s4, 0x5623f70d
	s_mov_b32 s5, 0x3eb0a609
	s_delay_alu instid0(VALU_DEP_1) | instid1(SALU_CYCLE_1)
	;; [unrolled: 4-line block ×6, first 2 shown]
	v_fma_f64 v[4:5], v[34:35], v[2:3], s[4:5]
	s_mov_b32 s4, 0x1423d8c5
	s_mov_b32 s5, 0x3e2f03c0
	s_delay_alu instid0(SALU_CYCLE_1) | instskip(SKIP_4) | instid1(VALU_DEP_1)
	v_fma_f64 v[2:3], v[34:35], s[6:7], s[4:5]
	s_mov_b32 s4, 0xf792de63
	s_mov_b32 s5, 0x3e685aaa
	;; [unrolled: 1-line block ×4, first 2 shown]
	v_fma_f64 v[2:3], v[34:35], v[2:3], s[4:5]
	s_mov_b32 s4, 0x660cbe45
	s_mov_b32 s5, 0xbe82ebc1
	s_delay_alu instid0(VALU_DEP_1) | instid1(SALU_CYCLE_1)
	v_fma_f64 v[2:3], v[34:35], v[2:3], s[4:5]
	s_mov_b32 s4, 0x9042bedd
	s_mov_b32 s5, 0xbed9696e
	s_delay_alu instid0(VALU_DEP_1) | instid1(SALU_CYCLE_1)
	;; [unrolled: 4-line block ×7, first 2 shown]
	v_fma_f64 v[6:7], v[34:35], v[2:3], s[4:5]
	s_mov_b32 s4, 0xd9876fd2
	s_mov_b32 s5, 0x3e1e9b6d
	s_delay_alu instid0(SALU_CYCLE_1) | instskip(SKIP_4) | instid1(VALU_DEP_1)
	v_fma_f64 v[2:3], v[34:35], s[6:7], s[4:5]
	s_mov_b32 s4, 0xdcd5a1c0
	s_mov_b32 s5, 0xbe54abc9
	;; [unrolled: 1-line block ×4, first 2 shown]
	v_fma_f64 v[2:3], v[34:35], v[2:3], s[4:5]
	s_mov_b32 s4, 0x7a80ab49
	s_mov_b32 s5, 0x3e89e0b7
	s_delay_alu instid0(VALU_DEP_1) | instid1(SALU_CYCLE_1)
	v_fma_f64 v[2:3], v[34:35], v[2:3], s[4:5]
	s_mov_b32 s4, 0x48445f5a
	s_mov_b32 s5, 0xbebd28ef
	s_delay_alu instid0(VALU_DEP_1) | instid1(SALU_CYCLE_1)
	v_fma_f64 v[2:3], v[34:35], v[2:3], s[4:5]
	s_mov_b32 s4, 0xd81b5e0e
	s_mov_b32 s5, 0x3eed30fb
	s_delay_alu instid0(VALU_DEP_1) | instid1(SALU_CYCLE_1)
	v_fma_f64 v[2:3], v[34:35], v[2:3], s[4:5]
	s_mov_b32 s4, 0x788e5623
	s_mov_b32 s5, 0xbf198c42
	s_delay_alu instid0(VALU_DEP_1) | instid1(SALU_CYCLE_1)
	v_fma_f64 v[2:3], v[34:35], v[2:3], s[4:5]
	s_mov_b32 s4, 0x66f5603f
	s_mov_b32 s5, 0x3f432071
	s_delay_alu instid0(VALU_DEP_1) | instid1(SALU_CYCLE_1)
	v_fma_f64 v[2:3], v[34:35], v[2:3], s[4:5]
	s_mov_b32 s4, 0xb5a64525
	s_mov_b32 s5, 0xbf67c0ce
	s_delay_alu instid0(VALU_DEP_1) | instid1(SALU_CYCLE_1)
	v_fma_f64 v[2:3], v[34:35], v[2:3], s[4:5]
	s_mov_b32 s4, 0x9539a628
	s_mov_b32 s5, 0x3f8750dc
	s_delay_alu instid0(VALU_DEP_1) | instid1(SALU_CYCLE_1)
	v_fma_f64 v[2:3], v[34:35], v[2:3], s[4:5]
	s_mov_b32 s4, 0xf5ea9c3d
	s_mov_b32 s5, 0xbfa08f7b
	s_delay_alu instid0(VALU_DEP_1) | instid1(SALU_CYCLE_1)
	v_fma_f64 v[2:3], v[34:35], v[2:3], s[4:5]
	s_mov_b32 s4, 0x1488161d
	s_mov_b32 s5, 0x3fab1b52
	s_delay_alu instid0(VALU_DEP_1) | instid1(SALU_CYCLE_1)
	v_fma_f64 v[2:3], v[34:35], v[2:3], s[4:5]
	s_mov_b32 s4, 0x652b82fe
	s_mov_b32 s5, 0xbff71547
	s_delay_alu instid0(SALU_CYCLE_1) | instskip(SKIP_2) | instid1(VALU_DEP_1)
	v_mul_f64 v[14:15], v[10:11], s[4:5]
	s_mov_b32 s4, 0xfefa39ef
	s_mov_b32 s5, 0xbfe62e42
	v_rndne_f64_e32 v[14:15], v[14:15]
	s_delay_alu instid0(VALU_DEP_1) | instskip(SKIP_3) | instid1(VALU_DEP_2)
	v_fma_f64 v[26:27], v[14:15], s[4:5], -v[10:11]
	s_mov_b32 s4, 0x3b39803f
	s_mov_b32 s5, 0xbc7abc9e
	v_add_f64 v[10:11], v[10:11], v[10:11]
	v_fma_f64 v[26:27], v[14:15], s[4:5], v[26:27]
	s_mov_b32 s4, 0xfca7ab0c
	s_mov_b32 s5, 0x3e928af3
	v_cvt_i32_f64_e32 v14, v[14:15]
	s_delay_alu instid0(VALU_DEP_2)
	v_fma_f64 v[34:35], v[26:27], s[6:7], s[4:5]
	s_mov_b32 s4, 0x623fde64
	s_mov_b32 s5, 0x3ec71dee
	s_delay_alu instid0(VALU_DEP_1) | instid1(SALU_CYCLE_1)
	v_fma_f64 v[34:35], v[26:27], v[34:35], s[4:5]
	s_mov_b32 s4, 0x7c89e6b0
	s_mov_b32 s5, 0x3efa0199
	s_delay_alu instid0(VALU_DEP_1) | instid1(SALU_CYCLE_1)
	v_fma_f64 v[34:35], v[26:27], v[34:35], s[4:5]
	s_mov_b32 s4, 0x14761f6e
	s_mov_b32 s5, 0x3f2a01a0
	s_delay_alu instid0(VALU_DEP_1) | instid1(SALU_CYCLE_1)
	v_fma_f64 v[34:35], v[26:27], v[34:35], s[4:5]
	s_mov_b32 s4, 0x1852b7b0
	s_mov_b32 s5, 0x3f56c16c
	s_delay_alu instid0(VALU_DEP_1) | instid1(SALU_CYCLE_1)
	v_fma_f64 v[34:35], v[26:27], v[34:35], s[4:5]
	s_mov_b32 s4, 0x11122322
	s_mov_b32 s5, 0x3f811111
	s_delay_alu instid0(VALU_DEP_1) | instid1(SALU_CYCLE_1)
	v_fma_f64 v[34:35], v[26:27], v[34:35], s[4:5]
	s_mov_b32 s4, 0x555502a1
	s_mov_b32 s5, 0x3fa55555
	s_delay_alu instid0(VALU_DEP_1) | instid1(SALU_CYCLE_1)
	v_fma_f64 v[34:35], v[26:27], v[34:35], s[4:5]
	s_mov_b32 s4, 0x55555511
	s_mov_b32 s5, 0x3fc55555
	s_delay_alu instid0(VALU_DEP_1) | instid1(SALU_CYCLE_1)
	v_fma_f64 v[34:35], v[26:27], v[34:35], s[4:5]
	s_mov_b32 s4, 11
	s_mov_b32 s5, 0x3fe00000
	s_delay_alu instid0(VALU_DEP_1) | instid1(SALU_CYCLE_1)
	v_fma_f64 v[34:35], v[26:27], v[34:35], s[4:5]
	s_delay_alu instid0(VALU_DEP_1) | instskip(NEXT) | instid1(VALU_DEP_1)
	v_fma_f64 v[34:35], v[26:27], v[34:35], 1.0
	v_fma_f64 v[26:27], v[26:27], v[34:35], 1.0
	s_delay_alu instid0(VALU_DEP_1) | instskip(NEXT) | instid1(VALU_DEP_1)
	v_ldexp_f64 v[14:15], v[26:27], v14
	v_dual_cndmask_b32 v15, 0, v15 :: v_dual_cndmask_b32 v14, 0, v14
	s_delay_alu instid0(VALU_DEP_1) | instskip(NEXT) | instid1(VALU_DEP_1)
	v_fma_f64 v[26:27], v[10:11], v[2:3], v[14:15]
	v_div_scale_f64 v[34:35], null, 0x40080000, 0x40080000, v[26:27]
	s_delay_alu instid0(VALU_DEP_1) | instskip(SKIP_2) | instid1(VALU_DEP_1)
	v_rcp_f64_e32 v[48:49], v[34:35]
	s_waitcnt_depctr 0xfff
	v_fma_f64 v[50:51], -v[34:35], v[48:49], 1.0
	v_fma_f64 v[48:49], v[48:49], v[50:51], v[48:49]
	s_delay_alu instid0(VALU_DEP_1) | instskip(NEXT) | instid1(VALU_DEP_1)
	v_fma_f64 v[50:51], -v[34:35], v[48:49], 1.0
	v_fma_f64 v[48:49], v[48:49], v[50:51], v[48:49]
	v_div_scale_f64 v[50:51], vcc_lo, v[26:27], 0x40080000, v[26:27]
	s_delay_alu instid0(VALU_DEP_1) | instskip(NEXT) | instid1(VALU_DEP_1)
	v_mul_f64 v[52:53], v[50:51], v[48:49]
	v_fma_f64 v[34:35], -v[34:35], v[52:53], v[50:51]
	s_delay_alu instid0(VALU_DEP_1) | instskip(NEXT) | instid1(VALU_DEP_1)
	v_div_fmas_f64 v[34:35], v[34:35], v[48:49], v[52:53]
	v_div_fixup_f64 v[26:27], v[34:35], 0x40080000, v[26:27]
	s_delay_alu instid0(VALU_DEP_1) | instskip(SKIP_1) | instid1(VALU_DEP_1)
	v_fma_f64 v[10:11], v[10:11], v[26:27], v[14:15]
	v_add_f64 v[14:15], v[0:1], 1.0
	v_div_scale_f64 v[34:35], null, v[14:15], v[14:15], v[0:1]
	s_delay_alu instid0(VALU_DEP_1) | instskip(SKIP_2) | instid1(VALU_DEP_1)
	v_rcp_f64_e32 v[48:49], v[34:35]
	s_waitcnt_depctr 0xfff
	v_fma_f64 v[50:51], -v[34:35], v[48:49], 1.0
	v_fma_f64 v[48:49], v[48:49], v[50:51], v[48:49]
	s_delay_alu instid0(VALU_DEP_1) | instskip(NEXT) | instid1(VALU_DEP_1)
	v_fma_f64 v[50:51], -v[34:35], v[48:49], 1.0
	v_fma_f64 v[48:49], v[48:49], v[50:51], v[48:49]
	v_div_scale_f64 v[50:51], vcc_lo, v[0:1], v[14:15], v[0:1]
	s_delay_alu instid0(VALU_DEP_1) | instskip(NEXT) | instid1(VALU_DEP_1)
	v_mul_f64 v[52:53], v[50:51], v[48:49]
	v_fma_f64 v[34:35], -v[34:35], v[52:53], v[50:51]
	s_delay_alu instid0(VALU_DEP_1) | instskip(NEXT) | instid1(VALU_DEP_1)
	v_div_fmas_f64 v[34:35], v[34:35], v[48:49], v[52:53]
	v_div_fixup_f64 v[34:35], v[34:35], v[14:15], v[0:1]
	v_add_f64 v[14:15], v[4:5], 1.0
	s_delay_alu instid0(VALU_DEP_2) | instskip(NEXT) | instid1(VALU_DEP_2)
	v_fma_f64 v[2:3], -v[34:35], v[26:27], v[2:3]
	v_div_scale_f64 v[48:49], null, v[14:15], v[14:15], v[4:5]
	v_fma_f64 v[26:27], -v[34:35], v[10:11], v[26:27]
	s_delay_alu instid0(VALU_DEP_2) | instskip(SKIP_2) | instid1(VALU_DEP_1)
	v_rcp_f64_e32 v[50:51], v[48:49]
	s_waitcnt_depctr 0xfff
	v_fma_f64 v[52:53], -v[48:49], v[50:51], 1.0
	v_fma_f64 v[50:51], v[50:51], v[52:53], v[50:51]
	s_delay_alu instid0(VALU_DEP_1) | instskip(NEXT) | instid1(VALU_DEP_1)
	v_fma_f64 v[52:53], -v[48:49], v[50:51], 1.0
	v_fma_f64 v[50:51], v[50:51], v[52:53], v[50:51]
	v_div_scale_f64 v[52:53], vcc_lo, v[4:5], v[14:15], v[4:5]
	s_delay_alu instid0(VALU_DEP_1) | instskip(NEXT) | instid1(VALU_DEP_1)
	v_mul_f64 v[54:55], v[52:53], v[50:51]
	v_fma_f64 v[48:49], -v[48:49], v[54:55], v[52:53]
	s_delay_alu instid0(VALU_DEP_1) | instskip(NEXT) | instid1(VALU_DEP_1)
	v_div_fmas_f64 v[48:49], v[48:49], v[50:51], v[54:55]
	v_div_fixup_f64 v[48:49], v[48:49], v[14:15], v[4:5]
	v_add_f64 v[14:15], v[6:7], 1.0
	s_delay_alu instid0(VALU_DEP_1) | instskip(NEXT) | instid1(VALU_DEP_1)
	v_div_scale_f64 v[50:51], null, v[14:15], v[14:15], v[6:7]
	v_rcp_f64_e32 v[52:53], v[50:51]
	s_waitcnt_depctr 0xfff
	v_fma_f64 v[54:55], -v[50:51], v[52:53], 1.0
	s_delay_alu instid0(VALU_DEP_1) | instskip(NEXT) | instid1(VALU_DEP_1)
	v_fma_f64 v[52:53], v[52:53], v[54:55], v[52:53]
	v_fma_f64 v[54:55], -v[50:51], v[52:53], 1.0
	s_delay_alu instid0(VALU_DEP_1) | instskip(SKIP_1) | instid1(VALU_DEP_1)
	v_fma_f64 v[52:53], v[52:53], v[54:55], v[52:53]
	v_div_scale_f64 v[54:55], vcc_lo, v[6:7], v[14:15], v[6:7]
	v_mul_f64 v[113:114], v[54:55], v[52:53]
	s_delay_alu instid0(VALU_DEP_1) | instskip(NEXT) | instid1(VALU_DEP_1)
	v_fma_f64 v[50:51], -v[50:51], v[113:114], v[54:55]
	v_div_fmas_f64 v[50:51], v[50:51], v[52:53], v[113:114]
	s_delay_alu instid0(VALU_DEP_1) | instskip(SKIP_1) | instid1(VALU_DEP_2)
	v_div_fixup_f64 v[50:51], v[50:51], v[14:15], v[6:7]
	v_fma_f64 v[14:15], -v[48:49], v[26:27], v[2:3]
	v_add_f64 v[52:53], v[50:51], -v[48:49]
	v_add_f64 v[54:55], v[50:51], -v[34:35]
	v_fma_f64 v[2:3], v[50:51], v[26:27], -v[2:3]
	v_add_f64 v[26:27], v[48:49], -v[34:35]
	s_delay_alu instid0(VALU_DEP_3) | instskip(NEXT) | instid1(VALU_DEP_2)
	v_mul_f64 v[54:55], v[52:53], v[54:55]
	v_mul_f64 v[26:27], v[52:53], v[26:27]
	s_delay_alu instid0(VALU_DEP_2) | instskip(NEXT) | instid1(VALU_DEP_2)
	v_div_scale_f64 v[113:114], null, v[54:55], v[54:55], v[14:15]
	v_div_scale_f64 v[34:35], null, v[26:27], v[26:27], v[2:3]
	s_delay_alu instid0(VALU_DEP_2) | instskip(NEXT) | instid1(VALU_DEP_1)
	v_rcp_f64_e32 v[115:116], v[113:114]
	v_rcp_f64_e32 v[48:49], v[34:35]
	s_waitcnt_depctr 0xfff
	v_fma_f64 v[117:118], -v[113:114], v[115:116], 1.0
	v_fma_f64 v[50:51], -v[34:35], v[48:49], 1.0
	s_delay_alu instid0(VALU_DEP_2) | instskip(NEXT) | instid1(VALU_DEP_2)
	v_fma_f64 v[115:116], v[115:116], v[117:118], v[115:116]
	v_fma_f64 v[48:49], v[48:49], v[50:51], v[48:49]
	s_delay_alu instid0(VALU_DEP_2) | instskip(NEXT) | instid1(VALU_DEP_2)
	v_fma_f64 v[117:118], -v[113:114], v[115:116], 1.0
	v_fma_f64 v[50:51], -v[34:35], v[48:49], 1.0
	s_delay_alu instid0(VALU_DEP_2) | instskip(SKIP_1) | instid1(VALU_DEP_3)
	v_fma_f64 v[115:116], v[115:116], v[117:118], v[115:116]
	v_div_scale_f64 v[117:118], vcc_lo, v[14:15], v[54:55], v[14:15]
	v_fma_f64 v[48:49], v[48:49], v[50:51], v[48:49]
	s_delay_alu instid0(VALU_DEP_2) | instskip(NEXT) | instid1(VALU_DEP_1)
	v_mul_f64 v[128:129], v[117:118], v[115:116]
	v_fma_f64 v[113:114], -v[113:114], v[128:129], v[117:118]
	s_delay_alu instid0(VALU_DEP_1) | instskip(SKIP_1) | instid1(VALU_DEP_2)
	v_div_fmas_f64 v[113:114], v[113:114], v[115:116], v[128:129]
	v_div_scale_f64 v[50:51], vcc_lo, v[2:3], v[26:27], v[2:3]
	v_div_fixup_f64 v[14:15], v[113:114], v[54:55], v[14:15]
	s_delay_alu instid0(VALU_DEP_2) | instskip(NEXT) | instid1(VALU_DEP_1)
	v_mul_f64 v[52:53], v[50:51], v[48:49]
	v_fma_f64 v[34:35], -v[34:35], v[52:53], v[50:51]
	s_delay_alu instid0(VALU_DEP_1) | instskip(NEXT) | instid1(VALU_DEP_1)
	v_div_fmas_f64 v[34:35], v[34:35], v[48:49], v[52:53]
	v_div_fixup_f64 v[26:27], v[34:35], v[26:27], v[2:3]
	s_delay_alu instid0(VALU_DEP_1) | instskip(NEXT) | instid1(VALU_DEP_1)
	v_add_f64 v[2:3], v[10:11], -v[26:27]
	v_add_f64 v[2:3], v[2:3], -v[14:15]
.LBB0_179:
	s_or_b32 exec_lo, exec_lo, s1
                                        ; implicit-def: $vgpr34_vgpr35
                                        ; implicit-def: $vgpr10_vgpr11
.LBB0_180:
	s_and_not1_saveexec_b32 s4, s0
	s_cbranch_execz .LBB0_182
; %bb.181:
	s_mov_b32 s0, 0x652b82fe
	s_mov_b32 s1, 0xbff71547
	;; [unrolled: 1-line block ×3, first 2 shown]
	v_mul_f64 v[0:1], v[10:11], s[0:1]
	s_mov_b32 s0, 0xfefa39ef
	s_mov_b32 s1, 0xbfe62e42
	;; [unrolled: 1-line block ×9, first 2 shown]
	s_delay_alu instid0(VALU_DEP_4) | instskip(SKIP_3) | instid1(VALU_DEP_3)
	v_fma_f64 v[14:15], v[34:35], s[18:19], s[8:9]
	s_mov_b32 s8, 0xdbd3a56
	s_mov_b32 s9, 0xbe542cbd
	v_cmp_nlt_f64_e32 vcc_lo, 0x4090cc00, v[10:11]
	v_rndne_f64_e32 v[0:1], v[0:1]
	s_delay_alu instid0(VALU_DEP_1) | instskip(SKIP_3) | instid1(VALU_DEP_2)
	v_fma_f64 v[2:3], v[0:1], s[0:1], -v[10:11]
	s_mov_b32 s0, 0x3b39803f
	s_mov_b32 s1, 0xbc7abc9e
	v_cvt_i32_f64_e32 v48, v[0:1]
	v_fma_f64 v[2:3], v[0:1], s[0:1], v[2:3]
	s_mov_b32 s0, 0xfca7ab0c
	s_mov_b32 s1, 0x3e928af3
	s_delay_alu instid0(VALU_DEP_1) | instid1(SALU_CYCLE_1)
	v_fma_f64 v[4:5], v[2:3], s[6:7], s[0:1]
	s_mov_b32 s0, 0x623fde64
	s_mov_b32 s1, 0x3ec71dee
	;; [unrolled: 1-line block ×4, first 2 shown]
	s_delay_alu instid0(VALU_DEP_1) | instskip(SKIP_2) | instid1(SALU_CYCLE_1)
	v_fma_f64 v[4:5], v[2:3], v[4:5], s[0:1]
	s_mov_b32 s0, 0xa9d197ff
	s_mov_b32 s1, 0x3e20dad1
	v_fma_f64 v[6:7], v[34:35], s[6:7], s[0:1]
	s_mov_b32 s0, 0x7c89e6b0
	s_mov_b32 s1, 0x3efa0199
	;; [unrolled: 1-line block ×4, first 2 shown]
	s_delay_alu instid0(VALU_DEP_2)
	v_fma_f64 v[4:5], v[2:3], v[4:5], s[0:1]
	s_mov_b32 s0, 0xc75966b
	s_mov_b32 s1, 0xbe5700d5
	s_delay_alu instid0(VALU_DEP_2) | instid1(SALU_CYCLE_1)
	v_fma_f64 v[6:7], v[34:35], v[6:7], s[0:1]
	s_mov_b32 s0, 0x14761f6e
	s_mov_b32 s1, 0x3f2a01a0
	s_delay_alu instid0(VALU_DEP_2) | instid1(SALU_CYCLE_1)
	;; [unrolled: 4-line block ×3, first 2 shown]
	v_fma_f64 v[6:7], v[34:35], v[6:7], s[0:1]
	s_mov_b32 s0, 0x60b81f04
	s_mov_b32 s1, 0xbec0ae46
	s_delay_alu instid0(VALU_DEP_2) | instskip(SKIP_2) | instid1(SALU_CYCLE_1)
	v_fma_f64 v[4:5], v[2:3], v[4:5], s[6:7]
	s_mov_b32 s6, 0xe5bda7a1
	s_mov_b32 s7, 0x3e21ca6d
	v_fma_f64 v[26:27], v[34:35], s[16:17], s[6:7]
	s_delay_alu instid0(VALU_DEP_3) | instskip(SKIP_4) | instid1(VALU_DEP_3)
	v_fma_f64 v[6:7], v[34:35], v[6:7], s[0:1]
	s_mov_b32 s0, 0x11122322
	s_mov_b32 s1, 0x3f811111
	;; [unrolled: 1-line block ×4, first 2 shown]
	v_fma_f64 v[4:5], v[2:3], v[4:5], s[0:1]
	s_mov_b32 s0, 0x1125f910
	s_mov_b32 s1, 0xbe01b3ee
	s_delay_alu instid0(SALU_CYCLE_1) | instskip(NEXT) | instid1(VALU_DEP_4)
	v_fma_f64 v[14:15], v[34:35], v[14:15], s[0:1]
	v_fma_f64 v[26:27], v[34:35], v[26:27], s[8:9]
	s_delay_alu instid0(VALU_DEP_4)
	v_fma_f64 v[6:7], v[34:35], v[6:7], s[6:7]
	s_mov_b32 s0, 0x555502a1
	s_mov_b32 s1, 0x3fa55555
	s_mov_b32 s6, 0xc7fe5e0
	s_mov_b32 s8, 0x9cefcdd4
	s_mov_b32 s7, 0xbf1e9a4f
	s_mov_b32 s9, 0xbe8729ef
	s_delay_alu instid0(VALU_DEP_4)
	v_fma_f64 v[4:5], v[2:3], v[4:5], s[0:1]
	s_mov_b32 s0, 0xfe46
	s_mov_b32 s1, 0xbdfa6ea4
	s_delay_alu instid0(VALU_DEP_4) | instid1(SALU_CYCLE_1)
	v_fma_f64 v[14:15], v[34:35], v[14:15], s[0:1]
	s_delay_alu instid0(VALU_DEP_4) | instskip(NEXT) | instid1(VALU_DEP_4)
	v_fma_f64 v[26:27], v[34:35], v[26:27], s[8:9]
	v_fma_f64 v[6:7], v[34:35], v[6:7], s[6:7]
	s_mov_b32 s0, 0x55555511
	s_mov_b32 s1, 0x3fc55555
	s_mov_b32 s6, 0xb2de1fa1
	s_mov_b32 s8, 0x859e5a97
	s_mov_b32 s7, 0x3f47c0ce
	s_mov_b32 s9, 0x3ec2da3b
	s_delay_alu instid0(VALU_DEP_4)
	v_fma_f64 v[4:5], v[2:3], v[4:5], s[0:1]
	s_mov_b32 s0, 0x94076a4f
	s_mov_b32 s1, 0x3e76be16
	s_delay_alu instid0(VALU_DEP_4) | instid1(SALU_CYCLE_1)
	v_fma_f64 v[14:15], v[34:35], v[14:15], s[0:1]
	s_delay_alu instid0(VALU_DEP_4) | instskip(NEXT) | instid1(VALU_DEP_4)
	v_fma_f64 v[26:27], v[34:35], v[26:27], s[8:9]
	;; [unrolled: 15-line block ×3, first 2 shown]
	v_fma_f64 v[6:7], v[34:35], v[6:7], s[6:7]
	s_mov_b32 s0, 0xf5ec8499
	s_mov_b32 s6, 0x619bc287
	;; [unrolled: 1-line block ×6, first 2 shown]
	s_delay_alu instid0(VALU_DEP_4) | instskip(NEXT) | instid1(VALU_DEP_4)
	v_fma_f64 v[4:5], v[2:3], v[4:5], 1.0
	v_fma_f64 v[14:15], v[34:35], v[14:15], s[6:7]
	s_delay_alu instid0(VALU_DEP_4) | instskip(NEXT) | instid1(VALU_DEP_4)
	v_fma_f64 v[26:27], v[34:35], v[26:27], s[8:9]
	v_fma_f64 v[6:7], v[34:35], v[6:7], s[0:1]
	s_mov_b32 s0, 0x148817a2
	s_mov_b32 s6, 0x8c3fcbfc
	;; [unrolled: 1-line block ×6, first 2 shown]
	s_delay_alu instid0(VALU_DEP_4) | instskip(NEXT) | instid1(VALU_DEP_4)
	v_fma_f64 v[0:1], v[2:3], v[4:5], 1.0
	v_fma_f64 v[2:3], v[34:35], v[14:15], s[6:7]
	s_delay_alu instid0(VALU_DEP_4) | instskip(NEXT) | instid1(VALU_DEP_4)
	v_fma_f64 v[4:5], v[34:35], v[26:27], s[8:9]
	v_fma_f64 v[6:7], v[34:35], v[6:7], s[0:1]
	s_mov_b32 s0, 0x7ada65b7
	s_mov_b32 s6, 0x43e2f7c7
	;; [unrolled: 1-line block ×6, first 2 shown]
	v_add_f64 v[14:15], v[10:11], v[10:11]
	v_ldexp_f64 v[0:1], v[0:1], v48
	v_fma_f64 v[2:3], v[34:35], v[2:3], s[6:7]
	v_fma_f64 v[4:5], v[34:35], v[4:5], s[8:9]
	;; [unrolled: 1-line block ×3, first 2 shown]
	s_mov_b32 s0, 0xa4491edf
	s_mov_b32 s6, 0x9fc04e6
	;; [unrolled: 1-line block ×4, first 2 shown]
	s_delay_alu instid0(VALU_DEP_4) | instskip(NEXT) | instid1(VALU_DEP_4)
	v_dual_cndmask_b32 v1, 0, v1 :: v_dual_cndmask_b32 v0, 0, v0
	v_fma_f64 v[2:3], v[34:35], v[2:3], s[0:1]
	s_delay_alu instid0(VALU_DEP_4) | instskip(NEXT) | instid1(VALU_DEP_3)
	v_fma_f64 v[4:5], v[34:35], v[4:5], s[6:7]
	v_fma_f64 v[10:11], v[14:15], v[6:7], v[0:1]
	s_mov_b32 s0, 0x1c218ec3
	s_mov_b32 s6, 0x52a11fb4
	s_mov_b32 s1, 0x3fb63916
	s_mov_b32 s7, 0x3ffcdd39
	s_delay_alu instid0(VALU_DEP_3) | instskip(NEXT) | instid1(VALU_DEP_3)
	v_fma_f64 v[0:1], v[34:35], v[2:3], s[0:1]
	v_fma_f64 v[4:5], v[34:35], v[4:5], s[6:7]
	s_delay_alu instid0(VALU_DEP_3) | instskip(NEXT) | instid1(VALU_DEP_2)
	v_add_f64 v[2:3], v[6:7], -v[10:11]
	v_add_f64 v[14:15], v[4:5], 1.0
	s_delay_alu instid0(VALU_DEP_2) | instskip(SKIP_1) | instid1(VALU_DEP_2)
	v_fma_f64 v[2:3], v[0:1], v[2:3], v[6:7]
	v_add_f64 v[6:7], v[4:5], -v[0:1]
	v_mul_f64 v[2:3], v[14:15], v[2:3]
	s_delay_alu instid0(VALU_DEP_1) | instskip(NEXT) | instid1(VALU_DEP_1)
	v_div_scale_f64 v[14:15], null, v[6:7], v[6:7], v[2:3]
	v_rcp_f64_e32 v[26:27], v[14:15]
	s_waitcnt_depctr 0xfff
	v_fma_f64 v[34:35], -v[14:15], v[26:27], 1.0
	s_delay_alu instid0(VALU_DEP_1) | instskip(NEXT) | instid1(VALU_DEP_1)
	v_fma_f64 v[26:27], v[26:27], v[34:35], v[26:27]
	v_fma_f64 v[34:35], -v[14:15], v[26:27], 1.0
	s_delay_alu instid0(VALU_DEP_1) | instskip(SKIP_1) | instid1(VALU_DEP_1)
	v_fma_f64 v[26:27], v[26:27], v[34:35], v[26:27]
	v_div_scale_f64 v[34:35], vcc_lo, v[2:3], v[6:7], v[2:3]
	v_mul_f64 v[48:49], v[34:35], v[26:27]
	s_delay_alu instid0(VALU_DEP_1) | instskip(NEXT) | instid1(VALU_DEP_1)
	v_fma_f64 v[14:15], -v[14:15], v[48:49], v[34:35]
	v_div_fmas_f64 v[14:15], v[14:15], v[26:27], v[48:49]
	s_delay_alu instid0(VALU_DEP_1) | instskip(SKIP_2) | instid1(VALU_DEP_1)
	v_div_fixup_f64 v[26:27], v[14:15], v[6:7], v[2:3]
	v_mov_b32_e32 v14, 0
	v_mov_b32_e32 v15, 0
	v_dual_mov_b32 v6, v14 :: v_dual_mov_b32 v7, v15
	s_delay_alu instid0(VALU_DEP_4)
	v_add_f64 v[2:3], v[10:11], -v[26:27]
.LBB0_182:
	s_or_b32 exec_lo, exec_lo, s4
                                        ; implicit-def: $vgpr34_vgpr35
                                        ; implicit-def: $vgpr10_vgpr11
.LBB0_183:
	s_and_not1_saveexec_b32 s0, s3
	s_cbranch_execz .LBB0_187
; %bb.184:
	v_mov_b32_e32 v14, 0
	v_mov_b32_e32 v15, 0
	s_delay_alu instid0(VALU_DEP_2) | instskip(SKIP_2) | instid1(VALU_DEP_3)
	v_mov_b32_e32 v2, v14
	v_mov_b32_e32 v0, v14
	s_mov_b32 s1, exec_lo
	v_mov_b32_e32 v1, v15
	v_mov_b32_e32 v3, v15
	v_cmpx_eq_u32_e32 0, v107
	s_cbranch_execz .LBB0_186
; %bb.185:
	s_mov_b32 s4, 0x652b82fe
	s_mov_b32 s5, 0xbff71547
	s_mov_b32 s6, 0x6a5dcb37
	v_mul_f64 v[0:1], v[10:11], s[4:5]
	s_mov_b32 s4, 0xfefa39ef
	s_mov_b32 s5, 0xbfe62e42
	;; [unrolled: 1-line block ×3, first 2 shown]
	v_cmp_nlt_f64_e32 vcc_lo, 0x4090cc00, v[10:11]
	s_delay_alu instid0(VALU_DEP_2) | instskip(NEXT) | instid1(VALU_DEP_1)
	v_rndne_f64_e32 v[0:1], v[0:1]
	v_fma_f64 v[2:3], v[0:1], s[4:5], -v[10:11]
	s_mov_b32 s4, 0x3b39803f
	s_mov_b32 s5, 0xbc7abc9e
	v_cvt_i32_f64_e32 v26, v[0:1]
	s_delay_alu instid0(VALU_DEP_2)
	v_fma_f64 v[2:3], v[0:1], s[4:5], v[2:3]
	s_mov_b32 s4, 0xfca7ab0c
	s_mov_b32 s5, 0x3e928af3
	s_delay_alu instid0(VALU_DEP_1) | instid1(SALU_CYCLE_1)
	v_fma_f64 v[4:5], v[2:3], s[6:7], s[4:5]
	s_mov_b32 s4, 0x623fde64
	s_mov_b32 s5, 0x3ec71dee
	;; [unrolled: 1-line block ×4, first 2 shown]
	s_delay_alu instid0(VALU_DEP_1) | instskip(SKIP_2) | instid1(SALU_CYCLE_1)
	v_fma_f64 v[4:5], v[2:3], v[4:5], s[4:5]
	s_mov_b32 s4, 0xa9d197ff
	s_mov_b32 s5, 0x3e20dad1
	v_fma_f64 v[6:7], v[34:35], s[6:7], s[4:5]
	s_mov_b32 s4, 0x7c89e6b0
	s_mov_b32 s5, 0x3efa0199
	s_delay_alu instid0(VALU_DEP_2) | instid1(SALU_CYCLE_1)
	v_fma_f64 v[4:5], v[2:3], v[4:5], s[4:5]
	s_mov_b32 s4, 0xc75966b
	s_mov_b32 s5, 0xbe5700d5
	s_delay_alu instid0(VALU_DEP_2) | instid1(SALU_CYCLE_1)
	;; [unrolled: 4-line block ×14, first 2 shown]
	v_fma_f64 v[6:7], v[34:35], v[6:7], s[4:5]
	s_mov_b32 s4, 0xf5ec8499
	s_mov_b32 s5, 0x3f908f7b
	s_delay_alu instid0(VALU_DEP_2) | instskip(NEXT) | instid1(VALU_DEP_2)
	v_fma_f64 v[4:5], v[2:3], v[4:5], 1.0
	v_fma_f64 v[6:7], v[34:35], v[6:7], s[4:5]
	s_mov_b32 s4, 0x148817a2
	s_mov_b32 s5, 0xbfab1b52
	s_delay_alu instid0(VALU_DEP_2) | instskip(SKIP_1) | instid1(VALU_DEP_3)
	v_fma_f64 v[0:1], v[2:3], v[4:5], 1.0
	v_add_f64 v[4:5], v[10:11], v[10:11]
	v_fma_f64 v[2:3], v[34:35], v[6:7], s[4:5]
	s_mov_b32 s4, 0x7ada65b7
	s_mov_b32 s5, 0x3fbd9ea8
	s_delay_alu instid0(VALU_DEP_3) | instskip(NEXT) | instid1(VALU_DEP_2)
	v_ldexp_f64 v[0:1], v[0:1], v26
	v_fma_f64 v[6:7], v[34:35], v[2:3], s[4:5]
	s_delay_alu instid0(VALU_DEP_2) | instskip(NEXT) | instid1(VALU_DEP_1)
	v_dual_cndmask_b32 v1, 0, v1 :: v_dual_cndmask_b32 v0, 0, v0
	v_fma_f64 v[2:3], v[4:5], v[6:7], v[0:1]
	s_delay_alu instid0(VALU_DEP_1) | instskip(NEXT) | instid1(VALU_DEP_1)
	v_add_f64 v[0:1], v[2:3], -v[6:7]
	v_div_scale_f64 v[4:5], null, v[0:1], v[0:1], v[6:7]
	s_delay_alu instid0(VALU_DEP_1) | instskip(SKIP_2) | instid1(VALU_DEP_1)
	v_rcp_f64_e32 v[10:11], v[4:5]
	s_waitcnt_depctr 0xfff
	v_fma_f64 v[26:27], -v[4:5], v[10:11], 1.0
	v_fma_f64 v[10:11], v[10:11], v[26:27], v[10:11]
	s_delay_alu instid0(VALU_DEP_1) | instskip(NEXT) | instid1(VALU_DEP_1)
	v_fma_f64 v[26:27], -v[4:5], v[10:11], 1.0
	v_fma_f64 v[10:11], v[10:11], v[26:27], v[10:11]
	v_div_scale_f64 v[26:27], vcc_lo, v[6:7], v[0:1], v[6:7]
	s_delay_alu instid0(VALU_DEP_1) | instskip(NEXT) | instid1(VALU_DEP_1)
	v_mul_f64 v[34:35], v[26:27], v[10:11]
	v_fma_f64 v[4:5], -v[4:5], v[34:35], v[26:27]
	s_delay_alu instid0(VALU_DEP_1) | instskip(NEXT) | instid1(VALU_DEP_1)
	v_div_fmas_f64 v[4:5], v[4:5], v[10:11], v[34:35]
	v_div_fixup_f64 v[0:1], v[4:5], v[0:1], v[6:7]
.LBB0_186:
	s_or_b32 exec_lo, exec_lo, s1
	v_dual_mov_b32 v27, v15 :: v_dual_mov_b32 v26, v14
	v_dual_mov_b32 v6, v14 :: v_dual_mov_b32 v7, v15
	;; [unrolled: 1-line block ×3, first 2 shown]
.LBB0_187:
	s_or_b32 exec_lo, exec_lo, s0
	s_delay_alu instid0(SALU_CYCLE_1)
	s_or_b32 exec_lo, exec_lo, s2
                                        ; implicit-def: $vgpr10_vgpr11
.LBB0_188:
	s_and_not1_saveexec_b32 s0, s12
	s_cbranch_execz .LBB0_300
.LBB0_189:
	s_mov_b32 s1, exec_lo
                                        ; implicit-def: $vgpr14_vgpr15
                                        ; implicit-def: $vgpr26_vgpr27
                                        ; implicit-def: $vgpr2_vgpr3
                                        ; implicit-def: $vgpr6_vgpr7
                                        ; implicit-def: $vgpr4_vgpr5
                                        ; implicit-def: $vgpr0_vgpr1
	v_cmpx_lt_i32_e32 0, v107
	s_xor_b32 s1, exec_lo, s1
	s_cbranch_execz .LBB0_197
; %bb.190:
	s_mov_b32 s2, exec_lo
                                        ; implicit-def: $vgpr14_vgpr15
                                        ; implicit-def: $vgpr26_vgpr27
                                        ; implicit-def: $vgpr2_vgpr3
                                        ; implicit-def: $vgpr6_vgpr7
                                        ; implicit-def: $vgpr4_vgpr5
                                        ; implicit-def: $vgpr0_vgpr1
	v_cmpx_lt_i32_e32 1, v107
	s_xor_b32 s2, exec_lo, s2
	s_cbranch_execz .LBB0_194
; %bb.191:
	v_mov_b32_e32 v14, 0
	v_mov_b32_e32 v15, 0
	s_delay_alu instid0(VALU_DEP_2) | instskip(SKIP_2) | instid1(VALU_DEP_4)
	v_mov_b32_e32 v2, v14
	v_mov_b32_e32 v6, v14
	;; [unrolled: 1-line block ×3, first 2 shown]
	v_dual_mov_b32 v0, v14 :: v_dual_mov_b32 v1, v15
	v_dual_mov_b32 v27, v15 :: v_dual_mov_b32 v26, v14
	v_mov_b32_e32 v3, v15
	v_mov_b32_e32 v7, v15
	v_mov_b32_e32 v5, v15
	s_mov_b32 s3, exec_lo
	v_cmpx_eq_u32_e32 2, v107
	s_cbranch_execz .LBB0_193
; %bb.192:
	s_mov_b32 s4, 0xba084876
	s_mov_b32 s6, 0x4c050a83
	;; [unrolled: 1-line block ×4, first 2 shown]
	v_cmp_nlt_f64_e32 vcc_lo, 0x4090cc00, v[10:11]
	v_fma_f64 v[0:1], v[10:11], s[6:7], s[4:5]
	s_mov_b32 s4, 0xe61e163f
	s_mov_b32 s5, 0xbea0d040
	s_mov_b32 s6, 0xa133a864
	s_mov_b32 s7, 0xbe4bd764
	s_delay_alu instid0(VALU_DEP_1)
	v_fma_f64 v[0:1], v[10:11], v[0:1], s[4:5]
	s_mov_b32 s4, 0x36d0827f
	s_mov_b32 s5, 0x3edfce17
	s_delay_alu instid0(VALU_DEP_1) | instid1(SALU_CYCLE_1)
	v_fma_f64 v[0:1], v[10:11], v[0:1], s[4:5]
	s_mov_b32 s4, 0x73eaaebc
	s_mov_b32 s5, 0xbf190978
	s_delay_alu instid0(VALU_DEP_1) | instid1(SALU_CYCLE_1)
	v_fma_f64 v[0:1], v[10:11], v[0:1], s[4:5]
	s_mov_b32 s4, 0x98dcd03d
	s_mov_b32 s5, 0x3f50dba5
	s_delay_alu instid0(VALU_DEP_1) | instid1(SALU_CYCLE_1)
	v_fma_f64 v[0:1], v[10:11], v[0:1], s[4:5]
	s_mov_b32 s4, 0xf2671cbe
	s_mov_b32 s5, 0xbf8305fb
	s_delay_alu instid0(VALU_DEP_1) | instid1(SALU_CYCLE_1)
	v_fma_f64 v[0:1], v[10:11], v[0:1], s[4:5]
	s_mov_b32 s4, 0x69e53f1a
	s_mov_b32 s5, 0x3faee9b9
	s_delay_alu instid0(VALU_DEP_1) | instid1(SALU_CYCLE_1)
	v_fma_f64 v[0:1], v[10:11], v[0:1], s[4:5]
	s_mov_b32 s4, 0xc3c042fd
	s_mov_b32 s5, 0x3e74cb06
	s_delay_alu instid0(SALU_CYCLE_1) | instskip(SKIP_4) | instid1(VALU_DEP_1)
	v_fma_f64 v[2:3], v[10:11], s[6:7], s[4:5]
	s_mov_b32 s4, 0xf35f5185
	s_mov_b32 s5, 0x3eba2d20
	s_mov_b32 s6, 0xed1b5c22
	s_mov_b32 s7, 0xbe43f0ae
	v_fma_f64 v[2:3], v[10:11], v[2:3], s[4:5]
	s_mov_b32 s4, 0x270e6f4
	s_mov_b32 s5, 0xbef092ad
	s_delay_alu instid0(VALU_DEP_1) | instid1(SALU_CYCLE_1)
	v_fma_f64 v[2:3], v[10:11], v[2:3], s[4:5]
	s_mov_b32 s4, 0x857e0a56
	s_mov_b32 s5, 0xbf35a7fe
	s_delay_alu instid0(VALU_DEP_1) | instid1(SALU_CYCLE_1)
	v_fma_f64 v[2:3], v[10:11], v[2:3], s[4:5]
	s_mov_b32 s4, 0xe0c1e780
	s_mov_b32 s5, 0x3f83f3f6
	s_delay_alu instid0(VALU_DEP_1) | instid1(SALU_CYCLE_1)
	v_fma_f64 v[2:3], v[10:11], v[2:3], s[4:5]
	s_mov_b32 s4, 0xa6d6b89f
	s_mov_b32 s5, 0xbfbe984a
	s_delay_alu instid0(VALU_DEP_1) | instid1(SALU_CYCLE_1)
	v_fma_f64 v[2:3], v[10:11], v[2:3], s[4:5]
	s_mov_b32 s4, 0xa78fc4a5
	s_mov_b32 s5, 0x3fe8dbbc
	s_delay_alu instid0(VALU_DEP_1) | instid1(SALU_CYCLE_1)
	v_fma_f64 v[4:5], v[10:11], v[2:3], s[4:5]
	s_mov_b32 s4, 0x2fc798c4
	s_mov_b32 s5, 0xbe9451d4
	s_delay_alu instid0(SALU_CYCLE_1) | instskip(SKIP_4) | instid1(VALU_DEP_1)
	v_fma_f64 v[2:3], v[10:11], s[6:7], s[4:5]
	s_mov_b32 s4, 0x5d760579
	s_mov_b32 s5, 0xbec5087b
	s_mov_b32 s6, 0xa4869262
	s_mov_b32 s7, 0xbe746cf1
	;; [unrolled: 29-line block ×3, first 2 shown]
	v_fma_f64 v[2:3], v[10:11], v[2:3], s[4:5]
	s_mov_b32 s4, 0x6aa26142
	s_mov_b32 s5, 0x3f156643
	s_delay_alu instid0(VALU_DEP_1) | instid1(SALU_CYCLE_1)
	v_fma_f64 v[2:3], v[10:11], v[2:3], s[4:5]
	s_mov_b32 s4, 0x57cb7fc3
	s_mov_b32 s5, 0xbf423418
	s_delay_alu instid0(VALU_DEP_1) | instid1(SALU_CYCLE_1)
	;; [unrolled: 4-line block ×7, first 2 shown]
	v_fma_f64 v[2:3], v[10:11], v[2:3], s[4:5]
	s_mov_b32 s4, 0x652b82fe
	s_mov_b32 s5, 0xbff71547
	s_delay_alu instid0(SALU_CYCLE_1) | instskip(SKIP_2) | instid1(VALU_DEP_1)
	v_mul_f64 v[14:15], v[10:11], s[4:5]
	s_mov_b32 s4, 0xfefa39ef
	s_mov_b32 s5, 0xbfe62e42
	v_rndne_f64_e32 v[14:15], v[14:15]
	s_delay_alu instid0(VALU_DEP_1) | instskip(SKIP_3) | instid1(VALU_DEP_2)
	v_fma_f64 v[26:27], v[14:15], s[4:5], -v[10:11]
	s_mov_b32 s4, 0x3b39803f
	s_mov_b32 s5, 0xbc7abc9e
	v_add_f64 v[10:11], v[10:11], v[10:11]
	v_fma_f64 v[26:27], v[14:15], s[4:5], v[26:27]
	s_mov_b32 s4, 0xfca7ab0c
	s_mov_b32 s5, 0x3e928af3
	v_cvt_i32_f64_e32 v14, v[14:15]
	s_delay_alu instid0(VALU_DEP_2)
	v_fma_f64 v[34:35], v[26:27], s[6:7], s[4:5]
	s_mov_b32 s4, 0x623fde64
	s_mov_b32 s5, 0x3ec71dee
	s_delay_alu instid0(VALU_DEP_1) | instid1(SALU_CYCLE_1)
	v_fma_f64 v[34:35], v[26:27], v[34:35], s[4:5]
	s_mov_b32 s4, 0x7c89e6b0
	s_mov_b32 s5, 0x3efa0199
	s_delay_alu instid0(VALU_DEP_1) | instid1(SALU_CYCLE_1)
	;; [unrolled: 4-line block ×8, first 2 shown]
	v_fma_f64 v[34:35], v[26:27], v[34:35], s[4:5]
	s_delay_alu instid0(VALU_DEP_1) | instskip(NEXT) | instid1(VALU_DEP_1)
	v_fma_f64 v[34:35], v[26:27], v[34:35], 1.0
	v_fma_f64 v[26:27], v[26:27], v[34:35], 1.0
	s_delay_alu instid0(VALU_DEP_1) | instskip(NEXT) | instid1(VALU_DEP_1)
	v_ldexp_f64 v[14:15], v[26:27], v14
	v_dual_cndmask_b32 v15, 0, v15 :: v_dual_cndmask_b32 v14, 0, v14
	s_delay_alu instid0(VALU_DEP_1) | instskip(NEXT) | instid1(VALU_DEP_1)
	v_fma_f64 v[26:27], v[10:11], v[2:3], v[14:15]
	v_div_scale_f64 v[34:35], null, 0x40080000, 0x40080000, v[26:27]
	s_delay_alu instid0(VALU_DEP_1) | instskip(SKIP_2) | instid1(VALU_DEP_1)
	v_rcp_f64_e32 v[48:49], v[34:35]
	s_waitcnt_depctr 0xfff
	v_fma_f64 v[50:51], -v[34:35], v[48:49], 1.0
	v_fma_f64 v[48:49], v[48:49], v[50:51], v[48:49]
	s_delay_alu instid0(VALU_DEP_1) | instskip(NEXT) | instid1(VALU_DEP_1)
	v_fma_f64 v[50:51], -v[34:35], v[48:49], 1.0
	v_fma_f64 v[48:49], v[48:49], v[50:51], v[48:49]
	v_div_scale_f64 v[50:51], vcc_lo, v[26:27], 0x40080000, v[26:27]
	s_delay_alu instid0(VALU_DEP_1) | instskip(NEXT) | instid1(VALU_DEP_1)
	v_mul_f64 v[52:53], v[50:51], v[48:49]
	v_fma_f64 v[34:35], -v[34:35], v[52:53], v[50:51]
	s_delay_alu instid0(VALU_DEP_1) | instskip(NEXT) | instid1(VALU_DEP_1)
	v_div_fmas_f64 v[34:35], v[34:35], v[48:49], v[52:53]
	v_div_fixup_f64 v[26:27], v[34:35], 0x40080000, v[26:27]
	s_delay_alu instid0(VALU_DEP_1) | instskip(SKIP_1) | instid1(VALU_DEP_1)
	v_fma_f64 v[10:11], v[10:11], v[26:27], v[14:15]
	v_add_f64 v[14:15], v[0:1], 1.0
	v_div_scale_f64 v[34:35], null, v[14:15], v[14:15], v[0:1]
	s_delay_alu instid0(VALU_DEP_1) | instskip(SKIP_2) | instid1(VALU_DEP_1)
	v_rcp_f64_e32 v[48:49], v[34:35]
	s_waitcnt_depctr 0xfff
	v_fma_f64 v[50:51], -v[34:35], v[48:49], 1.0
	v_fma_f64 v[48:49], v[48:49], v[50:51], v[48:49]
	s_delay_alu instid0(VALU_DEP_1) | instskip(NEXT) | instid1(VALU_DEP_1)
	v_fma_f64 v[50:51], -v[34:35], v[48:49], 1.0
	v_fma_f64 v[48:49], v[48:49], v[50:51], v[48:49]
	v_div_scale_f64 v[50:51], vcc_lo, v[0:1], v[14:15], v[0:1]
	s_delay_alu instid0(VALU_DEP_1) | instskip(NEXT) | instid1(VALU_DEP_1)
	v_mul_f64 v[52:53], v[50:51], v[48:49]
	v_fma_f64 v[34:35], -v[34:35], v[52:53], v[50:51]
	s_delay_alu instid0(VALU_DEP_1) | instskip(NEXT) | instid1(VALU_DEP_1)
	v_div_fmas_f64 v[34:35], v[34:35], v[48:49], v[52:53]
	v_div_fixup_f64 v[34:35], v[34:35], v[14:15], v[0:1]
	v_add_f64 v[14:15], v[4:5], 1.0
	s_delay_alu instid0(VALU_DEP_2) | instskip(NEXT) | instid1(VALU_DEP_2)
	v_fma_f64 v[2:3], -v[34:35], v[26:27], v[2:3]
	v_div_scale_f64 v[48:49], null, v[14:15], v[14:15], v[4:5]
	v_fma_f64 v[26:27], -v[34:35], v[10:11], v[26:27]
	s_delay_alu instid0(VALU_DEP_2) | instskip(SKIP_2) | instid1(VALU_DEP_1)
	v_rcp_f64_e32 v[50:51], v[48:49]
	s_waitcnt_depctr 0xfff
	v_fma_f64 v[52:53], -v[48:49], v[50:51], 1.0
	v_fma_f64 v[50:51], v[50:51], v[52:53], v[50:51]
	s_delay_alu instid0(VALU_DEP_1) | instskip(NEXT) | instid1(VALU_DEP_1)
	v_fma_f64 v[52:53], -v[48:49], v[50:51], 1.0
	v_fma_f64 v[50:51], v[50:51], v[52:53], v[50:51]
	v_div_scale_f64 v[52:53], vcc_lo, v[4:5], v[14:15], v[4:5]
	s_delay_alu instid0(VALU_DEP_1) | instskip(NEXT) | instid1(VALU_DEP_1)
	v_mul_f64 v[54:55], v[52:53], v[50:51]
	v_fma_f64 v[48:49], -v[48:49], v[54:55], v[52:53]
	s_delay_alu instid0(VALU_DEP_1) | instskip(NEXT) | instid1(VALU_DEP_1)
	v_div_fmas_f64 v[48:49], v[48:49], v[50:51], v[54:55]
	v_div_fixup_f64 v[48:49], v[48:49], v[14:15], v[4:5]
	v_add_f64 v[14:15], v[6:7], 1.0
	s_delay_alu instid0(VALU_DEP_1) | instskip(NEXT) | instid1(VALU_DEP_1)
	v_div_scale_f64 v[50:51], null, v[14:15], v[14:15], v[6:7]
	v_rcp_f64_e32 v[52:53], v[50:51]
	s_waitcnt_depctr 0xfff
	v_fma_f64 v[54:55], -v[50:51], v[52:53], 1.0
	s_delay_alu instid0(VALU_DEP_1) | instskip(NEXT) | instid1(VALU_DEP_1)
	v_fma_f64 v[52:53], v[52:53], v[54:55], v[52:53]
	v_fma_f64 v[54:55], -v[50:51], v[52:53], 1.0
	s_delay_alu instid0(VALU_DEP_1) | instskip(SKIP_1) | instid1(VALU_DEP_1)
	v_fma_f64 v[52:53], v[52:53], v[54:55], v[52:53]
	v_div_scale_f64 v[54:55], vcc_lo, v[6:7], v[14:15], v[6:7]
	v_mul_f64 v[113:114], v[54:55], v[52:53]
	s_delay_alu instid0(VALU_DEP_1) | instskip(NEXT) | instid1(VALU_DEP_1)
	v_fma_f64 v[50:51], -v[50:51], v[113:114], v[54:55]
	v_div_fmas_f64 v[50:51], v[50:51], v[52:53], v[113:114]
	s_delay_alu instid0(VALU_DEP_1) | instskip(SKIP_1) | instid1(VALU_DEP_2)
	v_div_fixup_f64 v[50:51], v[50:51], v[14:15], v[6:7]
	v_fma_f64 v[14:15], -v[48:49], v[26:27], v[2:3]
	v_add_f64 v[52:53], v[50:51], -v[48:49]
	v_add_f64 v[54:55], v[50:51], -v[34:35]
	v_fma_f64 v[2:3], v[50:51], v[26:27], -v[2:3]
	v_add_f64 v[26:27], v[48:49], -v[34:35]
	s_delay_alu instid0(VALU_DEP_3) | instskip(NEXT) | instid1(VALU_DEP_2)
	v_mul_f64 v[54:55], v[52:53], v[54:55]
	v_mul_f64 v[26:27], v[52:53], v[26:27]
	s_delay_alu instid0(VALU_DEP_2) | instskip(NEXT) | instid1(VALU_DEP_2)
	v_div_scale_f64 v[113:114], null, v[54:55], v[54:55], v[14:15]
	v_div_scale_f64 v[34:35], null, v[26:27], v[26:27], v[2:3]
	s_delay_alu instid0(VALU_DEP_2) | instskip(NEXT) | instid1(VALU_DEP_1)
	v_rcp_f64_e32 v[115:116], v[113:114]
	v_rcp_f64_e32 v[48:49], v[34:35]
	s_waitcnt_depctr 0xfff
	v_fma_f64 v[117:118], -v[113:114], v[115:116], 1.0
	v_fma_f64 v[50:51], -v[34:35], v[48:49], 1.0
	s_delay_alu instid0(VALU_DEP_2) | instskip(NEXT) | instid1(VALU_DEP_2)
	v_fma_f64 v[115:116], v[115:116], v[117:118], v[115:116]
	v_fma_f64 v[48:49], v[48:49], v[50:51], v[48:49]
	s_delay_alu instid0(VALU_DEP_2) | instskip(NEXT) | instid1(VALU_DEP_2)
	v_fma_f64 v[117:118], -v[113:114], v[115:116], 1.0
	v_fma_f64 v[50:51], -v[34:35], v[48:49], 1.0
	s_delay_alu instid0(VALU_DEP_2) | instskip(SKIP_1) | instid1(VALU_DEP_3)
	v_fma_f64 v[115:116], v[115:116], v[117:118], v[115:116]
	v_div_scale_f64 v[117:118], vcc_lo, v[14:15], v[54:55], v[14:15]
	v_fma_f64 v[48:49], v[48:49], v[50:51], v[48:49]
	s_delay_alu instid0(VALU_DEP_2) | instskip(NEXT) | instid1(VALU_DEP_1)
	v_mul_f64 v[128:129], v[117:118], v[115:116]
	v_fma_f64 v[113:114], -v[113:114], v[128:129], v[117:118]
	s_delay_alu instid0(VALU_DEP_1) | instskip(SKIP_1) | instid1(VALU_DEP_2)
	v_div_fmas_f64 v[113:114], v[113:114], v[115:116], v[128:129]
	v_div_scale_f64 v[50:51], vcc_lo, v[2:3], v[26:27], v[2:3]
	v_div_fixup_f64 v[14:15], v[113:114], v[54:55], v[14:15]
	s_delay_alu instid0(VALU_DEP_2) | instskip(NEXT) | instid1(VALU_DEP_1)
	v_mul_f64 v[52:53], v[50:51], v[48:49]
	v_fma_f64 v[34:35], -v[34:35], v[52:53], v[50:51]
	s_delay_alu instid0(VALU_DEP_1) | instskip(NEXT) | instid1(VALU_DEP_1)
	v_div_fmas_f64 v[34:35], v[34:35], v[48:49], v[52:53]
	v_div_fixup_f64 v[26:27], v[34:35], v[26:27], v[2:3]
	s_delay_alu instid0(VALU_DEP_1) | instskip(NEXT) | instid1(VALU_DEP_1)
	v_add_f64 v[2:3], v[10:11], -v[26:27]
	v_add_f64 v[2:3], v[2:3], -v[14:15]
.LBB0_193:
	s_or_b32 exec_lo, exec_lo, s3
                                        ; implicit-def: $vgpr10_vgpr11
.LBB0_194:
	s_and_not1_saveexec_b32 s2, s2
	s_cbranch_execz .LBB0_196
; %bb.195:
	s_mov_b32 s4, 0x652b82fe
	s_mov_b32 s5, 0xbff71547
	;; [unrolled: 1-line block ×3, first 2 shown]
	v_mul_f64 v[0:1], v[10:11], s[4:5]
	s_mov_b32 s4, 0xfefa39ef
	s_mov_b32 s5, 0xbfe62e42
	;; [unrolled: 1-line block ×9, first 2 shown]
	v_fma_f64 v[14:15], v[10:11], s[12:13], s[8:9]
	s_mov_b32 s8, 0x2ad55635
	s_mov_b32 s9, 0x3ebecad8
	v_cmp_nlt_f64_e32 vcc_lo, 0x4090cc00, v[10:11]
	s_delay_alu instid0(VALU_DEP_3) | instskip(NEXT) | instid1(VALU_DEP_1)
	v_rndne_f64_e32 v[0:1], v[0:1]
	v_fma_f64 v[2:3], v[0:1], s[4:5], -v[10:11]
	s_mov_b32 s4, 0x3b39803f
	s_mov_b32 s5, 0xbc7abc9e
	v_cvt_i32_f64_e32 v34, v[0:1]
	s_delay_alu instid0(VALU_DEP_2)
	v_fma_f64 v[2:3], v[0:1], s[4:5], v[2:3]
	s_mov_b32 s4, 0xfca7ab0c
	s_mov_b32 s5, 0x3e928af3
	s_delay_alu instid0(VALU_DEP_1) | instid1(SALU_CYCLE_1)
	v_fma_f64 v[4:5], v[2:3], s[6:7], s[4:5]
	s_mov_b32 s4, 0x623fde64
	s_mov_b32 s5, 0x3ec71dee
	;; [unrolled: 1-line block ×4, first 2 shown]
	s_delay_alu instid0(VALU_DEP_1)
	v_fma_f64 v[4:5], v[2:3], v[4:5], s[4:5]
	s_mov_b32 s4, 0x7c89e6b0
	s_mov_b32 s5, 0x3efa0199
	s_delay_alu instid0(VALU_DEP_1) | instid1(SALU_CYCLE_1)
	v_fma_f64 v[4:5], v[2:3], v[4:5], s[4:5]
	s_mov_b32 s4, 0x14761f6e
	s_mov_b32 s5, 0x3f2a01a0
	s_delay_alu instid0(VALU_DEP_1) | instid1(SALU_CYCLE_1)
	v_fma_f64 v[4:5], v[2:3], v[4:5], s[4:5]
	s_mov_b32 s4, 0x9f017ad7
	s_mov_b32 s5, 0x3eb45678
	s_delay_alu instid0(SALU_CYCLE_1) | instskip(SKIP_4) | instid1(VALU_DEP_2)
	v_fma_f64 v[6:7], v[10:11], s[6:7], s[4:5]
	s_mov_b32 s4, 0x1852b7b0
	s_mov_b32 s5, 0x3f56c16c
	;; [unrolled: 1-line block ×4, first 2 shown]
	v_fma_f64 v[4:5], v[2:3], v[4:5], s[4:5]
	s_mov_b32 s4, 0xcb5eca91
	s_mov_b32 s5, 0xbee84196
	s_delay_alu instid0(VALU_DEP_2) | instid1(SALU_CYCLE_1)
	v_fma_f64 v[6:7], v[10:11], v[6:7], s[4:5]
	s_mov_b32 s4, 0x11122322
	s_mov_b32 s5, 0x3f811111
	s_delay_alu instid0(VALU_DEP_2) | instid1(SALU_CYCLE_1)
	;; [unrolled: 4-line block ×3, first 2 shown]
	v_fma_f64 v[6:7], v[10:11], v[6:7], s[4:5]
	s_mov_b32 s4, 0x605c6322
	s_mov_b32 s5, 0xbf45010c
	s_delay_alu instid0(VALU_DEP_2) | instskip(SKIP_2) | instid1(SALU_CYCLE_1)
	v_fma_f64 v[4:5], v[2:3], v[4:5], s[6:7]
	s_mov_b32 s6, 0xa614b3
	s_mov_b32 s7, 0x3e8fc8ba
	v_fma_f64 v[26:27], v[10:11], s[16:17], s[6:7]
	s_delay_alu instid0(VALU_DEP_3) | instskip(SKIP_4) | instid1(VALU_DEP_3)
	v_fma_f64 v[6:7], v[10:11], v[6:7], s[4:5]
	s_mov_b32 s4, 0x55555511
	s_mov_b32 s5, 0x3fc55555
	;; [unrolled: 1-line block ×4, first 2 shown]
	v_fma_f64 v[4:5], v[2:3], v[4:5], s[4:5]
	s_mov_b32 s4, 0xa38c1acd
	s_mov_b32 s5, 0xbe6878e6
	s_delay_alu instid0(SALU_CYCLE_1) | instskip(NEXT) | instid1(VALU_DEP_4)
	v_fma_f64 v[14:15], v[10:11], v[14:15], s[4:5]
	v_fma_f64 v[26:27], v[10:11], v[26:27], s[8:9]
	s_delay_alu instid0(VALU_DEP_4)
	v_fma_f64 v[6:7], v[10:11], v[6:7], s[6:7]
	s_mov_b32 s4, 11
	s_mov_b32 s5, 0x3fe00000
	;; [unrolled: 1-line block ×6, first 2 shown]
	s_delay_alu instid0(VALU_DEP_4)
	v_fma_f64 v[4:5], v[2:3], v[4:5], s[4:5]
	s_mov_b32 s4, 0x1c6c69c7
	s_mov_b32 s5, 0xbec4876f
	s_delay_alu instid0(VALU_DEP_4) | instid1(SALU_CYCLE_1)
	v_fma_f64 v[14:15], v[10:11], v[14:15], s[4:5]
	s_delay_alu instid0(VALU_DEP_4) | instskip(NEXT) | instid1(VALU_DEP_4)
	v_fma_f64 v[26:27], v[10:11], v[26:27], s[8:9]
	v_fma_f64 v[6:7], v[10:11], v[6:7], s[6:7]
	s_mov_b32 s4, 0x91dc9122
	s_mov_b32 s6, 0xd07bbbb
	;; [unrolled: 1-line block ×6, first 2 shown]
	s_delay_alu instid0(VALU_DEP_4) | instskip(NEXT) | instid1(VALU_DEP_4)
	v_fma_f64 v[4:5], v[2:3], v[4:5], 1.0
	v_fma_f64 v[14:15], v[10:11], v[14:15], s[6:7]
	s_delay_alu instid0(VALU_DEP_4) | instskip(NEXT) | instid1(VALU_DEP_4)
	v_fma_f64 v[26:27], v[10:11], v[26:27], s[8:9]
	v_fma_f64 v[6:7], v[10:11], v[6:7], s[4:5]
	s_mov_b32 s4, 0x9997f6a0
	s_mov_b32 s6, 0x87e07b64
	;; [unrolled: 1-line block ×6, first 2 shown]
	s_delay_alu instid0(VALU_DEP_4) | instskip(NEXT) | instid1(VALU_DEP_4)
	v_fma_f64 v[0:1], v[2:3], v[4:5], 1.0
	v_fma_f64 v[2:3], v[10:11], v[14:15], s[6:7]
	s_delay_alu instid0(VALU_DEP_4) | instskip(NEXT) | instid1(VALU_DEP_4)
	v_fma_f64 v[4:5], v[10:11], v[26:27], s[8:9]
	v_fma_f64 v[6:7], v[10:11], v[6:7], s[4:5]
	s_mov_b32 s4, 0x55555441
	s_mov_b32 s6, 0x88f072ba
	;; [unrolled: 1-line block ×6, first 2 shown]
	v_add_f64 v[14:15], v[10:11], v[10:11]
	v_ldexp_f64 v[0:1], v[0:1], v34
	v_fma_f64 v[2:3], v[10:11], v[2:3], s[6:7]
	v_fma_f64 v[4:5], v[10:11], v[4:5], s[8:9]
	;; [unrolled: 1-line block ×3, first 2 shown]
	s_mov_b32 s4, 0x524d242a
	s_mov_b32 s6, 0xb2c2b91e
	;; [unrolled: 1-line block ×4, first 2 shown]
	s_delay_alu instid0(VALU_DEP_4) | instskip(NEXT) | instid1(VALU_DEP_4)
	v_dual_cndmask_b32 v1, 0, v1 :: v_dual_cndmask_b32 v0, 0, v0
	v_fma_f64 v[2:3], v[10:11], v[2:3], s[4:5]
	s_delay_alu instid0(VALU_DEP_4) | instskip(NEXT) | instid1(VALU_DEP_3)
	v_fma_f64 v[4:5], v[10:11], v[4:5], s[6:7]
	v_fma_f64 v[14:15], v[14:15], v[6:7], v[0:1]
	s_mov_b32 s4, 0x6e4ad393
	s_mov_b32 s6, 0xe91b528f
	s_mov_b32 s5, 0x3fc0ba91
	s_mov_b32 s7, 0x4006f456
	s_delay_alu instid0(VALU_DEP_3) | instskip(NEXT) | instid1(VALU_DEP_3)
	v_fma_f64 v[0:1], v[10:11], v[2:3], s[4:5]
	v_fma_f64 v[4:5], v[10:11], v[4:5], s[6:7]
	s_delay_alu instid0(VALU_DEP_3) | instskip(NEXT) | instid1(VALU_DEP_2)
	v_add_f64 v[2:3], v[6:7], -v[14:15]
	v_add_f64 v[10:11], v[4:5], 1.0
	s_delay_alu instid0(VALU_DEP_2) | instskip(SKIP_1) | instid1(VALU_DEP_2)
	v_fma_f64 v[2:3], v[0:1], v[2:3], v[6:7]
	v_add_f64 v[6:7], v[4:5], -v[0:1]
	v_mul_f64 v[2:3], v[10:11], v[2:3]
	s_delay_alu instid0(VALU_DEP_1) | instskip(NEXT) | instid1(VALU_DEP_1)
	v_div_scale_f64 v[10:11], null, v[6:7], v[6:7], v[2:3]
	v_rcp_f64_e32 v[26:27], v[10:11]
	s_waitcnt_depctr 0xfff
	v_fma_f64 v[34:35], -v[10:11], v[26:27], 1.0
	s_delay_alu instid0(VALU_DEP_1) | instskip(NEXT) | instid1(VALU_DEP_1)
	v_fma_f64 v[26:27], v[26:27], v[34:35], v[26:27]
	v_fma_f64 v[34:35], -v[10:11], v[26:27], 1.0
	s_delay_alu instid0(VALU_DEP_1) | instskip(SKIP_1) | instid1(VALU_DEP_1)
	v_fma_f64 v[26:27], v[26:27], v[34:35], v[26:27]
	v_div_scale_f64 v[34:35], vcc_lo, v[2:3], v[6:7], v[2:3]
	v_mul_f64 v[48:49], v[34:35], v[26:27]
	s_delay_alu instid0(VALU_DEP_1) | instskip(NEXT) | instid1(VALU_DEP_1)
	v_fma_f64 v[10:11], -v[10:11], v[48:49], v[34:35]
	v_div_fmas_f64 v[10:11], v[10:11], v[26:27], v[48:49]
	s_delay_alu instid0(VALU_DEP_1) | instskip(NEXT) | instid1(VALU_DEP_1)
	v_div_fixup_f64 v[26:27], v[10:11], v[6:7], v[2:3]
	v_add_f64 v[2:3], v[14:15], -v[26:27]
	v_mov_b32_e32 v14, 0
	v_mov_b32_e32 v15, 0
	s_delay_alu instid0(VALU_DEP_1)
	v_dual_mov_b32 v6, v14 :: v_dual_mov_b32 v7, v15
.LBB0_196:
	s_or_b32 exec_lo, exec_lo, s2
                                        ; implicit-def: $vgpr10_vgpr11
.LBB0_197:
	s_and_not1_saveexec_b32 s1, s1
	s_cbranch_execz .LBB0_201
; %bb.198:
	v_mov_b32_e32 v14, 0
	v_mov_b32_e32 v15, 0
	s_delay_alu instid0(VALU_DEP_2) | instskip(SKIP_2) | instid1(VALU_DEP_3)
	v_mov_b32_e32 v2, v14
	v_mov_b32_e32 v0, v14
	s_mov_b32 s2, exec_lo
	v_mov_b32_e32 v1, v15
	v_mov_b32_e32 v3, v15
	v_cmpx_eq_u32_e32 0, v107
	s_cbranch_execz .LBB0_200
; %bb.199:
	s_mov_b32 s4, 0x652b82fe
	s_mov_b32 s5, 0xbff71547
	;; [unrolled: 1-line block ×3, first 2 shown]
	v_mul_f64 v[0:1], v[10:11], s[4:5]
	s_mov_b32 s4, 0xfefa39ef
	s_mov_b32 s5, 0xbfe62e42
	;; [unrolled: 1-line block ×3, first 2 shown]
	v_cmp_nlt_f64_e32 vcc_lo, 0x4090cc00, v[10:11]
	s_delay_alu instid0(VALU_DEP_2) | instskip(NEXT) | instid1(VALU_DEP_1)
	v_rndne_f64_e32 v[0:1], v[0:1]
	v_fma_f64 v[2:3], v[0:1], s[4:5], -v[10:11]
	s_mov_b32 s4, 0x3b39803f
	s_mov_b32 s5, 0xbc7abc9e
	v_cvt_i32_f64_e32 v26, v[0:1]
	s_delay_alu instid0(VALU_DEP_2)
	v_fma_f64 v[2:3], v[0:1], s[4:5], v[2:3]
	s_mov_b32 s4, 0xfca7ab0c
	s_mov_b32 s5, 0x3e928af3
	s_delay_alu instid0(VALU_DEP_1) | instid1(SALU_CYCLE_1)
	v_fma_f64 v[4:5], v[2:3], s[6:7], s[4:5]
	s_mov_b32 s4, 0x623fde64
	s_mov_b32 s5, 0x3ec71dee
	;; [unrolled: 1-line block ×4, first 2 shown]
	s_delay_alu instid0(VALU_DEP_1)
	v_fma_f64 v[4:5], v[2:3], v[4:5], s[4:5]
	s_mov_b32 s4, 0x7c89e6b0
	s_mov_b32 s5, 0x3efa0199
	s_delay_alu instid0(VALU_DEP_1) | instid1(SALU_CYCLE_1)
	v_fma_f64 v[4:5], v[2:3], v[4:5], s[4:5]
	s_mov_b32 s4, 0x14761f6e
	s_mov_b32 s5, 0x3f2a01a0
	s_delay_alu instid0(VALU_DEP_1) | instid1(SALU_CYCLE_1)
	v_fma_f64 v[4:5], v[2:3], v[4:5], s[4:5]
	s_mov_b32 s4, 0x9f017ad7
	s_mov_b32 s5, 0x3eb45678
	s_delay_alu instid0(SALU_CYCLE_1)
	v_fma_f64 v[6:7], v[10:11], s[6:7], s[4:5]
	s_mov_b32 s4, 0x1852b7b0
	s_mov_b32 s5, 0x3f56c16c
	s_delay_alu instid0(VALU_DEP_2) | instid1(SALU_CYCLE_1)
	v_fma_f64 v[4:5], v[2:3], v[4:5], s[4:5]
	s_mov_b32 s4, 0xcb5eca91
	s_mov_b32 s5, 0xbee84196
	s_delay_alu instid0(VALU_DEP_2) | instid1(SALU_CYCLE_1)
	;; [unrolled: 4-line block ×10, first 2 shown]
	v_fma_f64 v[6:7], v[10:11], v[6:7], s[4:5]
	s_mov_b32 s4, 0x91dc9122
	s_mov_b32 s5, 0x3fb24924
	s_delay_alu instid0(VALU_DEP_2) | instskip(NEXT) | instid1(VALU_DEP_2)
	v_fma_f64 v[4:5], v[2:3], v[4:5], 1.0
	v_fma_f64 v[6:7], v[10:11], v[6:7], s[4:5]
	s_mov_b32 s4, 0x9997f6a0
	s_mov_b32 s5, 0xbfc99999
	s_delay_alu instid0(VALU_DEP_2) | instskip(SKIP_1) | instid1(VALU_DEP_3)
	v_fma_f64 v[0:1], v[2:3], v[4:5], 1.0
	v_add_f64 v[4:5], v[10:11], v[10:11]
	v_fma_f64 v[2:3], v[10:11], v[6:7], s[4:5]
	s_mov_b32 s4, 0x55555441
	s_mov_b32 s5, 0x3fd55555
	s_delay_alu instid0(VALU_DEP_3) | instskip(NEXT) | instid1(VALU_DEP_2)
	v_ldexp_f64 v[0:1], v[0:1], v26
	v_fma_f64 v[6:7], v[10:11], v[2:3], s[4:5]
	s_delay_alu instid0(VALU_DEP_2) | instskip(NEXT) | instid1(VALU_DEP_1)
	v_dual_cndmask_b32 v1, 0, v1 :: v_dual_cndmask_b32 v0, 0, v0
	v_fma_f64 v[2:3], v[4:5], v[6:7], v[0:1]
	s_delay_alu instid0(VALU_DEP_1) | instskip(NEXT) | instid1(VALU_DEP_1)
	v_add_f64 v[0:1], v[2:3], -v[6:7]
	v_div_scale_f64 v[4:5], null, v[0:1], v[0:1], v[6:7]
	s_delay_alu instid0(VALU_DEP_1) | instskip(SKIP_2) | instid1(VALU_DEP_1)
	v_rcp_f64_e32 v[10:11], v[4:5]
	s_waitcnt_depctr 0xfff
	v_fma_f64 v[26:27], -v[4:5], v[10:11], 1.0
	v_fma_f64 v[10:11], v[10:11], v[26:27], v[10:11]
	s_delay_alu instid0(VALU_DEP_1) | instskip(NEXT) | instid1(VALU_DEP_1)
	v_fma_f64 v[26:27], -v[4:5], v[10:11], 1.0
	v_fma_f64 v[10:11], v[10:11], v[26:27], v[10:11]
	v_div_scale_f64 v[26:27], vcc_lo, v[6:7], v[0:1], v[6:7]
	s_delay_alu instid0(VALU_DEP_1) | instskip(NEXT) | instid1(VALU_DEP_1)
	v_mul_f64 v[34:35], v[26:27], v[10:11]
	v_fma_f64 v[4:5], -v[4:5], v[34:35], v[26:27]
	s_delay_alu instid0(VALU_DEP_1) | instskip(NEXT) | instid1(VALU_DEP_1)
	v_div_fmas_f64 v[4:5], v[4:5], v[10:11], v[34:35]
	v_div_fixup_f64 v[0:1], v[4:5], v[0:1], v[6:7]
.LBB0_200:
	s_or_b32 exec_lo, exec_lo, s2
	v_dual_mov_b32 v27, v15 :: v_dual_mov_b32 v26, v14
	v_dual_mov_b32 v6, v14 :: v_dual_mov_b32 v7, v15
	;; [unrolled: 1-line block ×3, first 2 shown]
.LBB0_201:
	s_or_b32 exec_lo, exec_lo, s1
	s_delay_alu instid0(SALU_CYCLE_1)
	s_or_b32 exec_lo, exec_lo, s0
                                        ; implicit-def: $vgpr10_vgpr11
.LBB0_202:
	s_and_not1_saveexec_b32 s0, s31
	s_cbranch_execz .LBB0_216
.LBB0_203:
	s_mov_b32 s1, exec_lo
                                        ; implicit-def: $vgpr14_vgpr15
                                        ; implicit-def: $vgpr26_vgpr27
                                        ; implicit-def: $vgpr2_vgpr3
                                        ; implicit-def: $vgpr6_vgpr7
                                        ; implicit-def: $vgpr4_vgpr5
                                        ; implicit-def: $vgpr0_vgpr1
	v_cmpx_lt_i32_e32 0, v107
	s_xor_b32 s1, exec_lo, s1
	s_cbranch_execz .LBB0_211
; %bb.204:
	s_mov_b32 s2, exec_lo
                                        ; implicit-def: $vgpr14_vgpr15
                                        ; implicit-def: $vgpr26_vgpr27
                                        ; implicit-def: $vgpr2_vgpr3
                                        ; implicit-def: $vgpr6_vgpr7
                                        ; implicit-def: $vgpr4_vgpr5
                                        ; implicit-def: $vgpr0_vgpr1
	v_cmpx_lt_i32_e32 1, v107
	s_xor_b32 s2, exec_lo, s2
	s_cbranch_execz .LBB0_208
; %bb.205:
	v_mov_b32_e32 v14, 0
	v_mov_b32_e32 v15, 0
	s_delay_alu instid0(VALU_DEP_2) | instskip(SKIP_2) | instid1(VALU_DEP_4)
	v_mov_b32_e32 v2, v14
	v_mov_b32_e32 v6, v14
	;; [unrolled: 1-line block ×3, first 2 shown]
	v_dual_mov_b32 v0, v14 :: v_dual_mov_b32 v1, v15
	v_dual_mov_b32 v27, v15 :: v_dual_mov_b32 v26, v14
	v_mov_b32_e32 v3, v15
	v_mov_b32_e32 v7, v15
	;; [unrolled: 1-line block ×3, first 2 shown]
	s_mov_b32 s3, exec_lo
	v_cmpx_eq_u32_e32 2, v107
	s_cbranch_execz .LBB0_207
; %bb.206:
	s_mov_b32 s4, 0x69e53e5f
	s_mov_b32 s6, 0xf2659ea3
	s_mov_b32 s8, 0xa78fc4ff
	s_mov_b32 s12, 0xa6d85c05
	s_mov_b32 s5, 0x3faee9b9
	s_mov_b32 s7, 0xbf8305fb
	s_mov_b32 s9, 0x3fe8dbbc
	s_mov_b32 s13, 0xbfbe984a
	v_fma_f64 v[0:1], v[10:11], s[6:7], s[4:5]
	v_fma_f64 v[4:5], v[10:11], s[12:13], s[8:9]
	s_mov_b32 s4, 0xf83a3cdb
	s_mov_b32 s6, 0xc024dbf4
	s_mov_b32 s8, 0x499545e7
	s_mov_b32 s12, 0x6927e217
	s_mov_b32 s5, 0x401aa6b4
	s_mov_b32 s7, 0xbff06696
	s_mov_b32 s9, 0x3fddf24d
	s_mov_b32 s13, 0xbfacebf4
	v_fma_f64 v[6:7], v[10:11], s[6:7], s[4:5]
	v_fma_f64 v[2:3], v[10:11], s[12:13], s[8:9]
	;; [unrolled: 10-line block ×3, first 2 shown]
.LBB0_207:
	s_or_b32 exec_lo, exec_lo, s3
                                        ; implicit-def: $vgpr10_vgpr11
.LBB0_208:
	s_and_not1_saveexec_b32 s2, s2
	s_cbranch_execz .LBB0_210
; %bb.209:
	s_mov_b32 s4, 0x6e4ad393
	s_mov_b32 s6, 0x524bf7a9
	;; [unrolled: 1-line block ×8, first 2 shown]
	v_fma_f64 v[0:1], v[10:11], s[6:7], s[4:5]
	v_fma_f64 v[4:5], v[10:11], s[12:13], s[8:9]
	s_mov_b32 s4, 0x840c24c0
	s_mov_b32 s6, 0xf0f3516e
	;; [unrolled: 1-line block ×8, first 2 shown]
	v_fma_f64 v[2:3], v[10:11], s[6:7], s[4:5]
	v_fma_f64 v[26:27], v[10:11], s[12:13], s[8:9]
	v_mov_b32_e32 v14, 0
	v_mov_b32_e32 v15, 0
	s_delay_alu instid0(VALU_DEP_1)
	v_dual_mov_b32 v6, v14 :: v_dual_mov_b32 v7, v15
.LBB0_210:
	s_or_b32 exec_lo, exec_lo, s2
                                        ; implicit-def: $vgpr10_vgpr11
.LBB0_211:
	s_and_not1_saveexec_b32 s1, s1
	s_cbranch_execz .LBB0_215
; %bb.212:
	v_mov_b32_e32 v14, 0
	v_mov_b32_e32 v15, 0
	s_delay_alu instid0(VALU_DEP_2) | instskip(SKIP_2) | instid1(VALU_DEP_3)
	v_mov_b32_e32 v2, v14
	v_mov_b32_e32 v0, v14
	s_mov_b32 s2, exec_lo
	v_mov_b32_e32 v1, v15
	v_mov_b32_e32 v3, v15
	v_cmpx_eq_u32_e32 0, v107
	s_cbranch_execz .LBB0_214
; %bb.213:
	v_div_scale_f64 v[0:1], null, 0xc0140000, 0xc0140000, v[10:11]
	s_delay_alu instid0(VALU_DEP_1) | instskip(SKIP_2) | instid1(VALU_DEP_1)
	v_rcp_f64_e32 v[2:3], v[0:1]
	s_waitcnt_depctr 0xfff
	v_fma_f64 v[4:5], -v[0:1], v[2:3], 1.0
	v_fma_f64 v[2:3], v[2:3], v[4:5], v[2:3]
	s_delay_alu instid0(VALU_DEP_1) | instskip(NEXT) | instid1(VALU_DEP_1)
	v_fma_f64 v[4:5], -v[0:1], v[2:3], 1.0
	v_fma_f64 v[2:3], v[2:3], v[4:5], v[2:3]
	v_div_scale_f64 v[4:5], vcc_lo, v[10:11], 0xc0140000, v[10:11]
	s_delay_alu instid0(VALU_DEP_1) | instskip(NEXT) | instid1(VALU_DEP_1)
	v_mul_f64 v[6:7], v[4:5], v[2:3]
	v_fma_f64 v[0:1], -v[0:1], v[6:7], v[4:5]
	s_delay_alu instid0(VALU_DEP_1) | instskip(SKIP_1) | instid1(VALU_DEP_2)
	v_div_fmas_f64 v[0:1], v[0:1], v[2:3], v[6:7]
	v_div_scale_f64 v[2:3], null, 0xc0080000, 0xc0080000, v[10:11]
	v_div_fixup_f64 v[0:1], v[0:1], 0xc0140000, v[10:11]
	s_delay_alu instid0(VALU_DEP_2) | instskip(NEXT) | instid1(VALU_DEP_1)
	v_rcp_f64_e32 v[4:5], v[2:3]
	v_add_f64 v[0:1], v[0:1], 0.5
	s_waitcnt_depctr 0xfff
	v_fma_f64 v[6:7], -v[2:3], v[4:5], 1.0
	s_delay_alu instid0(VALU_DEP_1) | instskip(NEXT) | instid1(VALU_DEP_1)
	v_fma_f64 v[4:5], v[4:5], v[6:7], v[4:5]
	v_fma_f64 v[6:7], -v[2:3], v[4:5], 1.0
	s_delay_alu instid0(VALU_DEP_1) | instskip(SKIP_1) | instid1(VALU_DEP_1)
	v_fma_f64 v[4:5], v[4:5], v[6:7], v[4:5]
	v_div_scale_f64 v[6:7], vcc_lo, v[10:11], 0xc0080000, v[10:11]
	v_mul_f64 v[26:27], v[6:7], v[4:5]
	s_delay_alu instid0(VALU_DEP_1) | instskip(NEXT) | instid1(VALU_DEP_1)
	v_fma_f64 v[2:3], -v[2:3], v[26:27], v[6:7]
	v_div_fmas_f64 v[2:3], v[2:3], v[4:5], v[26:27]
	s_delay_alu instid0(VALU_DEP_1) | instskip(NEXT) | instid1(VALU_DEP_1)
	v_div_fixup_f64 v[2:3], v[2:3], 0xc0080000, v[10:11]
	v_add_f64 v[2:3], v[2:3], 1.0
.LBB0_214:
	s_or_b32 exec_lo, exec_lo, s2
	v_dual_mov_b32 v27, v15 :: v_dual_mov_b32 v26, v14
	v_dual_mov_b32 v6, v14 :: v_dual_mov_b32 v7, v15
	;; [unrolled: 1-line block ×3, first 2 shown]
.LBB0_215:
	s_or_b32 exec_lo, exec_lo, s1
.LBB0_216:
	s_delay_alu instid0(SALU_CYCLE_1) | instskip(NEXT) | instid1(SALU_CYCLE_1)
	s_or_b32 exec_lo, exec_lo, s0
	s_mov_b32 s0, exec_lo
	s_clause 0x1
	scratch_store_b64 off, v[0:1], s33 offset:304
	scratch_store_b64 off, v[2:3], s33 offset:368
	v_cmpx_lt_i32_e32 1, v112
; %bb.217:
	s_clause 0x1
	scratch_store_b64 off, v[4:5], s33 offset:312
	scratch_store_b64 off, v[26:27], s33 offset:376
; %bb.218:
	s_or_b32 exec_lo, exec_lo, s0
	v_and_b32_e32 v0, -2, v112
	s_mov_b32 s0, exec_lo
	s_delay_alu instid0(VALU_DEP_1)
	v_cmpx_eq_u32_e32 4, v0
; %bb.219:
	s_clause 0x1
	scratch_store_b64 off, v[6:7], s33 offset:320
	scratch_store_b64 off, v[14:15], s33 offset:384
; %bb.220:
	s_or_b32 exec_lo, exec_lo, s0
.LBB0_221:
	s_delay_alu instid0(SALU_CYCLE_1)
	s_or_b32 exec_lo, exec_lo, s30
	v_mov_b32_e32 v124, 0
	v_mov_b32_e32 v125, 0
	s_mov_b32 s1, exec_lo
	v_cmpx_lt_i32_e32 -2, v112
	s_cbranch_execz .LBB0_297
; %bb.222:
	v_mul_f64 v[4:5], v[76:77], v[60:61]
	v_mul_f64 v[6:7], v[56:57], -v[72:73]
	v_div_scale_f64 v[2:3], null, v[64:65], v[64:65], 0.5
	v_div_scale_f64 v[10:11], null, v[66:67], v[66:67], 0.5
	v_writelane_b32 v187, s1, 4
	v_div_scale_f64 v[118:119], s1, 0.5, v[66:67], 0.5
	s_clause 0x3
	scratch_store_b128 off, v[60:63], s33 offset:948
	scratch_store_b128 off, v[76:79], s33 offset:980
	;; [unrolled: 1-line block ×4, first 2 shown]
	v_add_f64 v[56:57], v[20:21], -v[36:37]
	v_add_f64 v[60:61], v[22:23], -v[38:39]
	;; [unrolled: 1-line block ×6, first 2 shown]
	s_mov_b32 s70, 0x652b82fe
	s_mov_b32 s71, 0x3ff71547
	;; [unrolled: 1-line block ×21, first 2 shown]
	v_div_scale_f64 v[0:1], null, v[66:67], v[66:67], v[4:5]
	v_div_scale_f64 v[14:15], null, v[64:65], v[64:65], v[6:7]
	v_rcp_f64_e32 v[34:35], v[2:3]
	v_rcp_f64_e32 v[48:49], v[10:11]
	v_div_scale_f64 v[116:117], vcc_lo, v[4:5], v[66:67], v[4:5]
	s_mov_b32 s93, 0x3f811111
	s_mov_b32 s94, 0x555502a1
	;; [unrolled: 1-line block ×7, first 2 shown]
	v_dual_mov_b32 v141, v56 :: v_dual_add_nc_u32 v186, v41, v103
	v_add_f64 v[108:109], v[86:87], -v[12:13]
	v_add_f64 v[110:111], v[70:71], -v[16:17]
	;; [unrolled: 1-line block ×3, first 2 shown]
	v_dual_mov_b32 v143, v92 :: v_dual_add_nc_u32 v126, v106, v102
	v_dual_mov_b32 v153, v60 :: v_dual_add_nc_u32 v136, v43, v98
	v_add_f64 v[120:121], v[68:69], -v[18:19]
	v_cmp_eq_f64_e64 s64, 1.0, v[76:77]
	v_cmp_eq_f64_e64 s66, 1.0, v[92:93]
	s_delay_alu instid0(VALU_DEP_4)
	v_cmp_lt_i32_e64 s7, 1, v136
	v_cmp_eq_f64_e64 s68, 1.0, v[94:95]
	v_dual_mov_b32 v155, v94 :: v_dual_and_b32 v138, 0x7fffffff, v77
	v_dual_mov_b32 v157, v72 :: v_dual_and_b32 v140, 0x7fffffff, v57
	v_and_b32_e32 v142, 0x7fffffff, v93
	v_and_b32_e32 v152, 0x7fffffff, v61
	;; [unrolled: 1-line block ×4, first 2 shown]
	s_mov_b32 s34, 0x55555555
	v_rcp_f64_e32 v[26:27], v[0:1]
	s_mov_b32 s102, 0x968915a9
	v_rcp_f64_e32 v[50:51], v[14:15]
	s_mov_b32 s52, 0x4222de17
	s_mov_b32 s56, 0x3abe935a
	s_mov_b32 s60, 0x47e6c9c2
	v_fma_f64 v[54:55], -v[2:3], v[34:35], 1.0
	s_delay_alu instid0(TRANS32_DEP_3)
	v_fma_f64 v[112:113], -v[10:11], v[48:49], 1.0
	s_mov_b32 s46, 0xcfa74449
	s_mov_b32 s48, 0x71bf3c30
	;; [unrolled: 1-line block ×22, first 2 shown]
	v_add_nc_u32_e32 v137, v46, v101
	v_add_nc_u32_e32 v47, v44, v99
	v_mov_b32_e32 v139, v76
	v_dual_mov_b32 v172, 0 :: v_dual_add_nc_u32 v127, v45, v100
	s_delay_alu instid0(VALU_DEP_4) | instskip(NEXT) | instid1(VALU_DEP_4)
	v_cmp_lt_i32_e64 s12, 1, v137
	v_cmp_lt_i32_e64 s8, 1, v47
	v_mov_b32_e32 v124, 0
	v_mov_b32_e32 v125, 0
	v_cmp_lt_i32_e64 s6, 0, v127
	s_delay_alu instid0(TRANS32_DEP_2) | instskip(SKIP_1) | instid1(TRANS32_DEP_1)
	v_fma_f64 v[52:53], -v[0:1], v[26:27], 1.0
	v_cmp_lt_i32_e64 s9, 1, v127
	v_fma_f64 v[114:115], -v[14:15], v[50:51], 1.0
	v_fma_f64 v[34:35], v[34:35], v[54:55], v[34:35]
	v_fma_f64 v[48:49], v[48:49], v[112:113], v[48:49]
	;; [unrolled: 1-line block ×3, first 2 shown]
	s_delay_alu instid0(VALU_DEP_4) | instskip(NEXT) | instid1(VALU_DEP_4)
	v_fma_f64 v[50:51], v[50:51], v[114:115], v[50:51]
	v_fma_f64 v[54:55], -v[2:3], v[34:35], 1.0
	s_delay_alu instid0(VALU_DEP_4) | instskip(NEXT) | instid1(VALU_DEP_4)
	v_fma_f64 v[112:113], -v[10:11], v[48:49], 1.0
	v_fma_f64 v[52:53], -v[0:1], v[26:27], 1.0
	s_delay_alu instid0(VALU_DEP_4) | instskip(NEXT) | instid1(VALU_DEP_4)
	v_fma_f64 v[114:115], -v[14:15], v[50:51], 1.0
	v_fma_f64 v[34:35], v[34:35], v[54:55], v[34:35]
	s_delay_alu instid0(VALU_DEP_4)
	v_fma_f64 v[48:49], v[48:49], v[112:113], v[48:49]
	v_div_scale_f64 v[54:55], s2, v[6:7], v[64:65], v[6:7]
	v_fma_f64 v[26:27], v[26:27], v[52:53], v[26:27]
	v_div_scale_f64 v[52:53], s0, 0.5, v[64:65], 0.5
	v_fma_f64 v[50:51], v[50:51], v[114:115], v[50:51]
	v_mul_f64 v[128:129], v[118:119], v[48:49]
	s_delay_alu instid0(VALU_DEP_4) | instskip(NEXT) | instid1(VALU_DEP_4)
	v_mul_f64 v[112:113], v[116:117], v[26:27]
	v_mul_f64 v[114:115], v[52:53], v[34:35]
	s_delay_alu instid0(VALU_DEP_4) | instskip(NEXT) | instid1(VALU_DEP_4)
	v_mul_f64 v[130:131], v[54:55], v[50:51]
	v_fma_f64 v[10:11], -v[10:11], v[128:129], v[118:119]
	s_delay_alu instid0(VALU_DEP_4) | instskip(NEXT) | instid1(VALU_DEP_4)
	v_fma_f64 v[0:1], -v[0:1], v[112:113], v[116:117]
	v_fma_f64 v[2:3], -v[2:3], v[114:115], v[52:53]
	s_delay_alu instid0(VALU_DEP_4) | instskip(NEXT) | instid1(VALU_DEP_3)
	v_fma_f64 v[14:15], -v[14:15], v[130:131], v[54:55]
	v_div_fmas_f64 v[26:27], v[0:1], v[26:27], v[112:113]
	s_mov_b32 vcc_lo, s0
	v_add_f64 v[112:113], v[84:85], -v[20:21]
	s_delay_alu instid0(VALU_DEP_4)
	v_div_fmas_f64 v[0:1], v[2:3], v[34:35], v[114:115]
	s_mov_b32 vcc_lo, s1
	s_mov_b32 s0, 0x54442d18
	v_div_fmas_f64 v[2:3], v[10:11], v[48:49], v[128:129]
	s_mov_b32 vcc_lo, s2
	s_mov_b32 s1, 0x400921fb
	v_div_fmas_f64 v[10:11], v[14:15], v[50:51], v[130:131]
	v_cmp_gt_f64_e32 vcc_lo, 0x10000000, v[96:97]
	v_add_f64 v[114:115], v[82:83], -v[22:23]
	v_div_fixup_f64 v[4:5], v[26:27], v[66:67], v[4:5]
	scratch_store_b64 off, v[112:113], s33 offset:832 ; 8-byte Folded Spill
	v_div_fixup_f64 v[0:1], v[0:1], v[64:65], 0.5
	v_div_fixup_f64 v[6:7], v[10:11], v[64:65], v[6:7]
	v_cndmask_b32_e64 v48, 0, 1, vcc_lo
	s_delay_alu instid0(VALU_DEP_1) | instskip(NEXT) | instid1(VALU_DEP_1)
	v_lshlrev_b32_e32 v48, 8, v48
	v_ldexp_f64 v[48:49], v[96:97], v48
	v_add_f64 v[96:97], v[84:85], -v[16:17]
	v_add_f64 v[84:85], v[82:83], -v[18:19]
	;; [unrolled: 1-line block ×6, first 2 shown]
	v_mul_f64 v[22:23], v[66:67], v[112:113]
	v_mul_lo_u32 v68, v103, 56
	v_mul_lo_u32 v69, v102, 56
	v_mul_f64 v[10:11], v[56:57], v[4:5]
	v_mul_f64 v[14:15], v[60:61], v[4:5]
	;; [unrolled: 1-line block ×3, first 2 shown]
	scratch_store_b64 off, v[0:1], s33 offset:896 ; 8-byte Folded Spill
	v_div_fixup_f64 v[0:1], v[2:3], v[66:67], 0.5
	v_lshlrev_b32_e32 v2, 3, v100
	v_lshlrev_b32_e32 v3, 3, v101
	v_mul_f64 v[24:25], v[76:77], v[6:7]
	v_mul_f64 v[26:27], v[92:93], v[6:7]
	;; [unrolled: 1-line block ×3, first 2 shown]
	v_rsq_f64_e32 v[50:51], v[48:49]
	v_mul_f64 v[12:13], v[66:67], v[96:97]
	v_mul_f64 v[10:11], v[56:57], v[10:11]
	;; [unrolled: 1-line block ×4, first 2 shown]
	scratch_store_b64 off, v[0:1], s33 offset:904 ; 8-byte Folded Spill
	v_lshlrev_b32_e32 v1, 3, v99
	v_mul_lo_u32 v0, v98, 56
	v_fma_f64 v[12:13], v[64:65], v[110:111], v[12:13]
	v_mul_f64 v[52:53], v[48:49], v[50:51]
	v_mul_f64 v[50:51], v[50:51], 0.5
	scratch_store_b64 off, v[114:115], s33 offset:840 ; 8-byte Folded Spill
	v_fma_f64 v[10:11], v[76:77], v[24:25], -v[10:11]
	v_fma_f64 v[14:15], v[92:93], v[26:27], -v[14:15]
	;; [unrolled: 1-line block ×3, first 2 shown]
	v_fma_f64 v[54:55], -v[50:51], v[52:53], 0.5
	s_delay_alu instid0(VALU_DEP_4) | instskip(NEXT) | instid1(VALU_DEP_4)
	v_mul_f64 v[6:7], v[10:11], s[70:71]
	v_mul_f64 v[24:25], v[14:15], s[70:71]
	s_delay_alu instid0(VALU_DEP_4)
	v_mul_f64 v[26:27], v[4:5], s[70:71]
	v_cmp_nlt_f64_e64 s2, 0x40900000, v[14:15]
	v_cmp_ngt_f64_e64 s3, 0xc090cc00, v[14:15]
	v_cmp_nlt_f64_e64 s4, 0x40900000, v[4:5]
	v_cmp_ngt_f64_e64 s5, 0xc090cc00, v[4:5]
	v_fma_f64 v[52:53], v[52:53], v[54:55], v[52:53]
	v_fma_f64 v[50:51], v[50:51], v[54:55], v[50:51]
	v_rndne_f64_e32 v[6:7], v[6:7]
	v_rndne_f64_e32 v[24:25], v[24:25]
	;; [unrolled: 1-line block ×3, first 2 shown]
	v_fma_f64 v[54:55], -v[52:53], v[52:53], v[48:49]
	s_delay_alu instid0(VALU_DEP_4) | instskip(NEXT) | instid1(VALU_DEP_4)
	v_fma_f64 v[28:29], v[6:7], s[74:75], v[10:11]
	v_fma_f64 v[30:31], v[24:25], s[74:75], v[14:15]
	s_delay_alu instid0(VALU_DEP_4) | instskip(SKIP_1) | instid1(VALU_DEP_4)
	v_fma_f64 v[32:33], v[26:27], s[74:75], v[4:5]
	s_mov_b32 s75, 0x3fe62e42
	v_fma_f64 v[52:53], v[54:55], v[50:51], v[52:53]
	v_cvt_i32_f64_e32 v54, v[6:7]
	v_fma_f64 v[28:29], v[6:7], s[78:79], v[28:29]
	v_fma_f64 v[30:31], v[24:25], s[78:79], v[30:31]
	;; [unrolled: 1-line block ×3, first 2 shown]
	s_mov_b32 s79, 0x3c7abc9e
	s_delay_alu instid0(VALU_DEP_3) | instskip(NEXT) | instid1(VALU_DEP_3)
	v_fma_f64 v[34:35], v[28:29], s[82:83], s[80:81]
	v_fma_f64 v[36:37], v[30:31], s[82:83], s[80:81]
	s_delay_alu instid0(VALU_DEP_3) | instskip(NEXT) | instid1(VALU_DEP_3)
	v_fma_f64 v[38:39], v[32:33], s[82:83], s[80:81]
	v_fma_f64 v[34:35], v[28:29], v[34:35], s[84:85]
	;; [unrolled: 3-line block ×13, first 2 shown]
	s_delay_alu instid0(VALU_DEP_3) | instskip(NEXT) | instid1(VALU_DEP_3)
	v_fma_f64 v[38:39], v[32:33], v[38:39], s[98:99]
	v_fma_f64 v[34:35], v[28:29], v[34:35], 1.0
	s_delay_alu instid0(VALU_DEP_3) | instskip(NEXT) | instid1(VALU_DEP_3)
	v_fma_f64 v[36:37], v[30:31], v[36:37], 1.0
	v_fma_f64 v[38:39], v[32:33], v[38:39], 1.0
	s_delay_alu instid0(VALU_DEP_3) | instskip(SKIP_1) | instid1(VALU_DEP_4)
	v_fma_f64 v[6:7], v[28:29], v[34:35], 1.0
	v_cvt_i32_f64_e32 v34, v[24:25]
	v_fma_f64 v[24:25], v[30:31], v[36:37], 1.0
	v_cvt_i32_f64_e32 v30, v[26:27]
	v_fma_f64 v[26:27], v[32:33], v[38:39], 1.0
	v_fma_f64 v[28:29], -v[52:53], v[52:53], v[48:49]
	v_ldexp_f64 v[6:7], v[6:7], v54
	v_ldexp_f64 v[24:25], v[24:25], v34
	s_delay_alu instid0(VALU_DEP_4) | instskip(NEXT) | instid1(VALU_DEP_4)
	v_ldexp_f64 v[26:27], v[26:27], v30
	v_fma_f64 v[28:29], v[28:29], v[50:51], v[52:53]
	v_cndmask_b32_e64 v30, 0, 0xffffff80, vcc_lo
	v_cmp_class_f64_e64 vcc_lo, v[48:49], 0x260
	v_mul_f64 v[6:7], v[6:7], s[0:1]
	v_mul_f64 v[24:25], v[24:25], s[0:1]
	;; [unrolled: 1-line block ×3, first 2 shown]
	v_cmp_nlt_f64_e64 s0, 0x40900000, v[10:11]
	v_ldexp_f64 v[28:29], v[28:29], v30
	v_cmp_ngt_f64_e64 s1, 0xc090cc00, v[10:11]
	v_cndmask_b32_e64 v10, 0x7ff00000, v25, s2
	v_cndmask_b32_e64 v14, 0x7ff00000, v27, s4
	;; [unrolled: 1-line block ×3, first 2 shown]
	v_dual_cndmask_b32 v5, v29, v49 :: v_dual_cndmask_b32 v4, v28, v48
	s_and_b32 vcc_lo, s1, s0
	v_cndmask_b32_e64 v11, 0, v10, s3
	s_delay_alu instid0(VALU_DEP_3)
	v_cndmask_b32_e64 v7, 0, v7, s1
	v_cndmask_b32_e32 v6, 0, v6, vcc_lo
	s_and_b32 vcc_lo, s3, s2
	v_cndmask_b32_e64 v15, 0, v14, s5
	v_cndmask_b32_e32 v10, 0, v24, vcc_lo
	s_and_b32 vcc_lo, s5, s4
	v_div_scale_f64 v[24:25], null, v[4:5], v[4:5], v[6:7]
	v_cndmask_b32_e32 v14, 0, v26, vcc_lo
	s_delay_alu instid0(VALU_DEP_3) | instskip(SKIP_1) | instid1(VALU_DEP_3)
	v_div_scale_f64 v[26:27], null, v[4:5], v[4:5], v[10:11]
	v_div_scale_f64 v[50:51], vcc_lo, v[6:7], v[4:5], v[6:7]
	v_div_scale_f64 v[28:29], null, v[4:5], v[4:5], v[14:15]
	v_cmp_lt_i32_e64 s2, -1, v44
	s_add_i32 s3, s33, 0x1b0
	v_cmp_lt_i32_e64 s5, 1, v186
	v_cmp_lt_i32_e64 s4, 0, v47
	s_delay_alu instid0(VALU_DEP_3) | instskip(SKIP_1) | instid1(VALU_DEP_1)
	v_writelane_b32 v187, s2, 5
	v_cmp_lt_i32_e64 s2, -1, v41
	v_writelane_b32 v187, s2, 6
	v_cmp_lt_i32_e64 s2, -1, v45
	s_delay_alu instid0(VALU_DEP_1) | instskip(SKIP_1) | instid1(VALU_DEP_1)
	v_writelane_b32 v187, s2, 7
	v_cmp_lt_i32_e64 s2, -1, v106
	v_writelane_b32 v187, s2, 8
	v_cmp_lt_i32_e64 s2, -1, v46
	v_rcp_f64_e32 v[30:31], v[24:25]
	s_delay_alu instid0(VALU_DEP_1) | instskip(SKIP_3) | instid1(VALU_DEP_1)
	v_writelane_b32 v187, s2, 9
	v_cmp_lt_i32_e64 s2, -1, v43
	v_rcp_f64_e32 v[32:33], v[26:27]
	v_rcp_f64_e32 v[34:35], v[28:29]
	v_writelane_b32 v187, s2, 10
	s_mov_b32 s2, s3
	s_movk_i32 s3, 0x48
	s_addk_i32 s2, 0x70
	s_delay_alu instid0(SALU_CYCLE_1) | instskip(SKIP_3) | instid1(TRANS32_DEP_3)
	v_writelane_b32 v187, s2, 11
	v_cmp_lt_i32_e64 s2, 0, v186
	v_writelane_b32 v187, s5, 12
	v_cmp_lt_i32_e64 s5, 0, v126
	v_fma_f64 v[36:37], -v[24:25], v[30:31], 1.0
	s_delay_alu instid0(TRANS32_DEP_2) | instskip(NEXT) | instid1(TRANS32_DEP_1)
	v_fma_f64 v[38:39], -v[26:27], v[32:33], 1.0
	v_fma_f64 v[48:49], -v[28:29], v[34:35], 1.0
	s_delay_alu instid0(VALU_DEP_3) | instskip(NEXT) | instid1(VALU_DEP_3)
	v_fma_f64 v[30:31], v[30:31], v[36:37], v[30:31]
	v_fma_f64 v[32:33], v[32:33], v[38:39], v[32:33]
	s_delay_alu instid0(VALU_DEP_3) | instskip(NEXT) | instid1(VALU_DEP_3)
	v_fma_f64 v[34:35], v[34:35], v[48:49], v[34:35]
	v_fma_f64 v[36:37], -v[24:25], v[30:31], 1.0
	s_delay_alu instid0(VALU_DEP_3) | instskip(NEXT) | instid1(VALU_DEP_3)
	v_fma_f64 v[38:39], -v[26:27], v[32:33], 1.0
	v_fma_f64 v[48:49], -v[28:29], v[34:35], 1.0
	s_delay_alu instid0(VALU_DEP_3) | instskip(SKIP_1) | instid1(VALU_DEP_4)
	v_fma_f64 v[30:31], v[30:31], v[36:37], v[30:31]
	v_div_scale_f64 v[36:37], s0, v[10:11], v[4:5], v[10:11]
	v_fma_f64 v[32:33], v[32:33], v[38:39], v[32:33]
	v_div_scale_f64 v[38:39], s1, v[14:15], v[4:5], v[14:15]
	v_fma_f64 v[34:35], v[34:35], v[48:49], v[34:35]
	v_mul_f64 v[48:49], v[50:51], v[30:31]
	s_delay_alu instid0(VALU_DEP_4) | instskip(NEXT) | instid1(VALU_DEP_3)
	v_mul_f64 v[52:53], v[36:37], v[32:33]
	v_mul_f64 v[54:55], v[38:39], v[34:35]
	s_delay_alu instid0(VALU_DEP_3) | instskip(SKIP_1) | instid1(VALU_DEP_4)
	v_fma_f64 v[24:25], -v[24:25], v[48:49], v[50:51]
	v_mul_f64 v[50:51], v[66:67], v[108:109]
	v_fma_f64 v[20:21], -v[26:27], v[52:53], v[36:37]
	v_mul_f64 v[36:37], v[66:67], v[114:115]
	;; [unrolled: 2-line block ×3, first 2 shown]
	v_mul_f64 v[38:39], v[66:67], v[82:83]
	v_div_fmas_f64 v[24:25], v[24:25], v[30:31], v[48:49]
	s_mov_b32 vcc_lo, s0
	v_cmp_lt_i32_e64 s0, 1, v126
	v_div_fmas_f64 v[20:21], v[20:21], v[32:33], v[52:53]
	s_mov_b32 vcc_lo, s1
	v_cmp_lt_i32_e64 s1, 0, v137
	v_fma_f64 v[8:9], v[64:65], v[8:9], v[50:51]
	v_writelane_b32 v187, s0, 13
	v_cmp_lt_i32_e64 s0, 0, v136
	scratch_store_b64 off, v[12:13], s33 offset:848 ; 8-byte Folded Spill
	v_fma_f64 v[12:13], v[64:65], v[16:17], v[22:23]
	v_div_fmas_f64 v[26:27], v[26:27], v[34:35], v[54:55]
	v_writelane_b32 v187, s7, 14
	v_writelane_b32 v187, s2, 15
	s_and_b32 s2, s2, s4
	v_writelane_b32 v187, s4, 16
	v_writelane_b32 v187, s2, 17
	s_and_b32 s2, s5, s6
	v_writelane_b32 v187, s5, 18
	v_writelane_b32 v187, s6, 19
	v_div_fixup_f64 v[158:159], v[24:25], v[4:5], v[6:7]
	v_div_fixup_f64 v[168:169], v[20:21], v[4:5], v[10:11]
	v_writelane_b32 v187, s2, 20
	scratch_store_b64 off, v[8:9], s33 offset:888 ; 8-byte Folded Spill
	v_writelane_b32 v187, s0, 21
	s_and_b32 s0, s0, s1
	scratch_store_b64 off, v[12:13], s33 offset:856 ; 8-byte Folded Spill
	v_fma_f64 v[12:13], v[64:65], v[120:121], v[28:29]
	v_div_fixup_f64 v[170:171], v[26:27], v[4:5], v[14:15]
	v_writelane_b32 v187, s1, 22
	s_add_i32 s1, s33, 0x1b0
	v_writelane_b32 v187, s0, 23
	v_cmp_eq_f64_e64 s0, 1.0, v[56:57]
	scratch_store_b64 off, v[12:13], s33 offset:864 ; 8-byte Folded Spill
	v_fma_f64 v[12:13], v[64:65], v[18:19], v[36:37]
	v_writelane_b32 v187, s0, 24
	v_cmp_eq_f64_e64 s0, 1.0, v[60:61]
	s_delay_alu instid0(VALU_DEP_1) | instskip(SKIP_1) | instid1(VALU_DEP_1)
	v_writelane_b32 v187, s0, 25
	v_cmp_eq_f64_e64 s0, 1.0, v[72:73]
	v_writelane_b32 v187, s0, 26
	s_add_i32 s0, s1, 16
	s_add_i32 s1, s33, 0x1b0
	v_writelane_b32 v187, s0, 27
	s_add_i32 s0, s3, s1
	s_delay_alu instid0(SALU_CYCLE_1) | instskip(SKIP_1) | instid1(SALU_CYCLE_1)
	v_writelane_b32 v187, s0, 28
	s_add_i32 s0, s33, 0x1b0
	v_add3_u32 v1, v68, v1, s0
	scratch_store_b64 off, v[12:13], s33 offset:872 ; 8-byte Folded Spill
	v_fma_f64 v[12:13], v[64:65], v[122:123], v[38:39]
	v_writelane_b32 v187, s8, 29
	s_add_i32 s0, s33, 0x1b0
	scratch_store_b32 off, v1, s33 offset:912 ; 4-byte Folded Spill
	v_add3_u32 v1, v69, v2, s0
	s_add_i32 s0, s33, 0x1b0
	v_writelane_b32 v187, s9, 30
	v_add3_u32 v0, v0, v3, s0
	s_mov_b32 s0, 0
	scratch_store_b32 off, v1, s33 offset:916 ; 4-byte Folded Spill
	v_writelane_b32 v187, s12, 31
	s_clause 0x1
	scratch_store_b32 off, v0, s33 offset:920
	scratch_store_b64 off, v[12:13], s33 offset:880
	s_branch .LBB0_225
.LBB0_223:                              ;   in Loop: Header=BB0_225 Depth=1
	s_or_b32 exec_lo, exec_lo, s104
	v_readlane_b32 s8, v187, 29
	v_readlane_b32 s9, v187, 30
	;; [unrolled: 1-line block ×3, first 2 shown]
.LBB0_224:                              ;   in Loop: Header=BB0_225 Depth=1
	s_or_b32 exec_lo, exec_lo, s39
	v_readlane_b32 s0, v188, 1
	s_add_i32 s1, s33, 0x170
	v_mul_f64 v[2:3], v[174:175], v[74:75]
	v_readlane_b32 s39, v188, 2
	s_delay_alu instid0(VALU_DEP_3) | instskip(SKIP_2) | instid1(VALU_DEP_1)
	s_add_i32 s0, s0, s1
	scratch_load_b64 v[0:1], off, s0
	v_readlane_b32 s0, v188, 0
	v_cmp_eq_u32_e32 vcc_lo, s0, v107
	s_add_i32 s0, s0, 1
	s_or_b32 s39, vcc_lo, s39
	v_mul_f64 v[2:3], v[2:3], v[58:59]
	s_waitcnt vmcnt(0)
	s_delay_alu instid0(VALU_DEP_1)
	v_fma_f64 v[124:125], v[2:3], v[0:1], v[124:125]
	s_and_not1_b32 exec_lo, exec_lo, s39
	s_cbranch_execz .LBB0_296
.LBB0_225:                              ; =>This Loop Header: Depth=1
                                        ;     Child Loop BB0_231 Depth 2
                                        ;     Child Loop BB0_234 Depth 2
                                        ;     Child Loop BB0_238 Depth 2
                                        ;       Child Loop BB0_240 Depth 3
                                        ;     Child Loop BB0_244 Depth 2
                                        ;       Child Loop BB0_246 Depth 3
                                        ;     Child Loop BB0_255 Depth 2
                                        ;     Child Loop BB0_258 Depth 2
                                        ;     Child Loop BB0_262 Depth 2
                                        ;       Child Loop BB0_264 Depth 3
                                        ;     Child Loop BB0_268 Depth 2
                                        ;       Child Loop BB0_270 Depth 3
	;; [unrolled: 6-line block ×3, first 2 shown]
                                        ; implicit-def: $vgpr188 : SGPR spill to VGPR lane
	scratch_load_b64 v[20:21], off, s33 offset:824 ; 8-byte Folded Reload
	v_writelane_b32 v188, s0, 0
	s_lshl_b32 s0, s0, 3
	s_add_i32 s1, s33, 0x130
	scratch_store_b64 off, v[158:159], s33 offset:432
	v_writelane_b32 v188, s0, 1
	s_add_i32 s0, s0, s1
	scratch_load_b64 v[0:1], off, s0
	s_waitcnt vmcnt(0)
	v_add_f64 v[2:3], v[0:1], 1.0
	v_mul_f64 v[0:1], v[0:1], 0.5
	s_delay_alu instid0(VALU_DEP_2) | instskip(NEXT) | instid1(VALU_DEP_2)
	v_div_scale_f64 v[4:5], null, v[2:3], v[2:3], 1.0
	v_div_scale_f64 v[6:7], null, v[20:21], v[20:21], v[0:1]
	v_div_scale_f64 v[16:17], vcc_lo, 1.0, v[2:3], 1.0
	s_delay_alu instid0(VALU_DEP_3) | instskip(NEXT) | instid1(VALU_DEP_2)
	v_rcp_f64_e32 v[8:9], v[4:5]
	v_rcp_f64_e32 v[10:11], v[6:7]
	s_waitcnt_depctr 0xfff
	v_fma_f64 v[12:13], -v[4:5], v[8:9], 1.0
	v_fma_f64 v[14:15], -v[6:7], v[10:11], 1.0
	s_delay_alu instid0(VALU_DEP_2) | instskip(NEXT) | instid1(VALU_DEP_2)
	v_fma_f64 v[8:9], v[8:9], v[12:13], v[8:9]
	v_fma_f64 v[10:11], v[10:11], v[14:15], v[10:11]
	s_delay_alu instid0(VALU_DEP_2) | instskip(NEXT) | instid1(VALU_DEP_2)
	v_fma_f64 v[12:13], -v[4:5], v[8:9], 1.0
	v_fma_f64 v[14:15], -v[6:7], v[10:11], 1.0
	s_delay_alu instid0(VALU_DEP_2) | instskip(SKIP_1) | instid1(VALU_DEP_3)
	v_fma_f64 v[8:9], v[8:9], v[12:13], v[8:9]
	v_div_scale_f64 v[12:13], s0, v[0:1], v[20:21], v[0:1]
	v_fma_f64 v[10:11], v[10:11], v[14:15], v[10:11]
	s_delay_alu instid0(VALU_DEP_3) | instskip(NEXT) | instid1(VALU_DEP_2)
	v_mul_f64 v[14:15], v[16:17], v[8:9]
	v_mul_f64 v[18:19], v[12:13], v[10:11]
	s_delay_alu instid0(VALU_DEP_2) | instskip(NEXT) | instid1(VALU_DEP_2)
	v_fma_f64 v[4:5], -v[4:5], v[14:15], v[16:17]
	v_fma_f64 v[6:7], -v[6:7], v[18:19], v[12:13]
	s_delay_alu instid0(VALU_DEP_2) | instskip(SKIP_1) | instid1(VALU_DEP_2)
	v_div_fmas_f64 v[4:5], v[4:5], v[8:9], v[14:15]
	s_mov_b32 vcc_lo, s0
	v_div_fmas_f64 v[6:7], v[6:7], v[10:11], v[18:19]
	s_delay_alu instid0(VALU_DEP_2) | instskip(NEXT) | instid1(VALU_DEP_2)
	v_div_fixup_f64 v[62:63], v[4:5], v[2:3], 1.0
	v_div_fixup_f64 v[0:1], v[6:7], v[20:21], v[0:1]
	s_delay_alu instid0(VALU_DEP_1) | instskip(SKIP_3) | instid1(VALU_DEP_1)
	v_mul_f64 v[184:185], v[0:1], v[62:63]
	scratch_load_b64 v[0:1], off, s33 offset:848 ; 8-byte Folded Reload
	s_waitcnt vmcnt(0)
	v_mul_f64 v[0:1], v[0:1], v[184:185]
	v_add_f64 v[0:1], v[0:1], v[0:1]
	s_delay_alu instid0(VALU_DEP_1) | instskip(SKIP_2) | instid1(VALU_DEP_1)
	v_fma_f64 v[2:3], v[110:111], v[62:63], v[0:1]
	s_mov_b32 s0, exec_lo
	v_readlane_b32 s1, v187, 15
	s_and_b32 s1, s0, s1
	s_delay_alu instid0(SALU_CYCLE_1)
	s_mov_b32 exec_lo, s1
	s_cbranch_execz .LBB0_227
; %bb.226:                              ;   in Loop: Header=BB0_225 Depth=1
	s_delay_alu instid0(VALU_DEP_2)
	v_mul_f64 v[0:1], v[158:159], v[2:3]
	scratch_store_b64 off, v[0:1], s33 offset:488
.LBB0_227:                              ;   in Loop: Header=BB0_225 Depth=1
	s_or_b32 exec_lo, exec_lo, s0
	s_clause 0x1
	scratch_load_b64 v[0:1], off, s33 offset:856
	scratch_load_b64 v[4:5], off, s33 offset:832
	s_waitcnt vmcnt(1)
	v_mul_f64 v[0:1], v[0:1], v[184:185]
	s_delay_alu instid0(VALU_DEP_1) | instskip(SKIP_1) | instid1(VALU_DEP_1)
	v_add_f64 v[0:1], v[0:1], v[0:1]
	s_waitcnt vmcnt(0)
	v_fma_f64 v[0:1], v[4:5], v[62:63], v[0:1]
	s_mov_b32 s0, exec_lo
	v_readlane_b32 s1, v187, 16
	s_delay_alu instid0(VALU_DEP_1) | instskip(NEXT) | instid1(SALU_CYCLE_1)
	s_and_b32 s1, s0, s1
	s_mov_b32 exec_lo, s1
	s_cbranch_execz .LBB0_229
; %bb.228:                              ;   in Loop: Header=BB0_225 Depth=1
	s_delay_alu instid0(VALU_DEP_2)
	v_mul_f64 v[4:5], v[158:159], v[0:1]
	scratch_store_b64 off, v[4:5], s33 offset:440
.LBB0_229:                              ;   in Loop: Header=BB0_225 Depth=1
	s_or_b32 exec_lo, exec_lo, s0
	scratch_load_b64 v[4:5], off, s33 offset:896 ; 8-byte Folded Reload
	s_waitcnt vmcnt(0)
	v_fma_f64 v[58:59], v[4:5], v[62:63], v[184:185]
	s_mov_b32 s0, exec_lo
	v_readlane_b32 s1, v187, 12
	s_delay_alu instid0(VALU_DEP_1) | instskip(NEXT) | instid1(SALU_CYCLE_1)
	s_and_b32 s1, s0, s1
	s_mov_b32 exec_lo, s1
	s_cbranch_execz .LBB0_232
; %bb.230:                              ;   in Loop: Header=BB0_225 Depth=1
	scratch_load_b64 v[4:5], off, s33 offset:488
	v_readlane_b32 s3, v187, 11
	s_mov_b32 s1, 1
	s_mov_b32 s2, 0
	.p2align	6
.LBB0_231:                              ;   Parent Loop BB0_225 Depth=1
                                        ; =>  This Inner Loop Header: Depth=2
	scratch_load_b64 v[6:7], off, s3 offset:-112
	v_cvt_f64_i32_e32 v[8:9], s1
	s_add_i32 s1, s1, 1
	s_delay_alu instid0(SALU_CYCLE_1) | instskip(NEXT) | instid1(VALU_DEP_2)
	v_cmp_eq_u32_e32 vcc_lo, s1, v186
	v_mul_f64 v[8:9], v[58:59], v[8:9]
	s_waitcnt vmcnt(0)
	s_delay_alu instid0(VALU_DEP_1) | instskip(NEXT) | instid1(VALU_DEP_1)
	v_mul_f64 v[6:7], v[6:7], v[8:9]
	v_fma_f64 v[4:5], v[2:3], v[4:5], v[6:7]
	scratch_store_b64 off, v[4:5], s3
	s_add_i32 s3, s3, 56
	s_or_b32 s2, vcc_lo, s2
	s_delay_alu instid0(SALU_CYCLE_1)
	s_and_not1_b32 exec_lo, exec_lo, s2
	s_cbranch_execnz .LBB0_231
.LBB0_232:                              ;   in Loop: Header=BB0_225 Depth=1
	s_or_b32 exec_lo, exec_lo, s0
	scratch_load_b64 v[2:3], off, s33 offset:904 ; 8-byte Folded Reload
	s_waitcnt vmcnt(0)
	v_fma_f64 v[90:91], v[2:3], v[62:63], v[184:185]
	s_and_saveexec_b32 s0, s8
	s_cbranch_execz .LBB0_235
; %bb.233:                              ;   in Loop: Header=BB0_225 Depth=1
	scratch_load_b64 v[2:3], off, s33 offset:440
	v_dual_mov_b32 v4, v158 :: v_dual_mov_b32 v5, v159
	v_readlane_b32 s3, v187, 27
	s_mov_b32 s1, 1
	s_mov_b32 s2, 0
	.p2align	6
.LBB0_234:                              ;   Parent Loop BB0_225 Depth=1
                                        ; =>  This Inner Loop Header: Depth=2
	v_cvt_f64_i32_e32 v[6:7], s1
	s_add_i32 s1, s1, 1
	s_delay_alu instid0(SALU_CYCLE_1) | instskip(NEXT) | instid1(VALU_DEP_2)
	v_cmp_eq_u32_e32 vcc_lo, s1, v47
	v_mul_f64 v[6:7], v[90:91], v[6:7]
	s_delay_alu instid0(VALU_DEP_1) | instskip(SKIP_2) | instid1(VALU_DEP_1)
	v_mul_f64 v[4:5], v[4:5], v[6:7]
	s_waitcnt vmcnt(0)
	v_dual_mov_b32 v7, v3 :: v_dual_mov_b32 v6, v2
	v_fma_f64 v[2:3], v[0:1], v[6:7], v[4:5]
	v_dual_mov_b32 v4, v6 :: v_dual_mov_b32 v5, v7
	scratch_store_b64 off, v[2:3], s3
	s_add_i32 s3, s3, 8
	s_or_b32 s2, vcc_lo, s2
	s_delay_alu instid0(SALU_CYCLE_1)
	s_and_not1_b32 exec_lo, exec_lo, s2
	s_cbranch_execnz .LBB0_234
.LBB0_235:                              ;   in Loop: Header=BB0_225 Depth=1
	v_writelane_b32 v188, s39, 2
	s_or_b32 exec_lo, exec_lo, s0
	s_delay_alu instid0(SALU_CYCLE_1) | instskip(SKIP_1) | instid1(VALU_DEP_1)
	s_mov_b32 s0, exec_lo
	v_readlane_b32 s1, v187, 17
	s_and_b32 s1, s0, s1
	s_delay_alu instid0(SALU_CYCLE_1)
	s_mov_b32 exec_lo, s1
	s_cbranch_execz .LBB0_241
; %bb.236:                              ;   in Loop: Header=BB0_225 Depth=1
	v_mov_b32_e32 v2, 0
	v_mov_b32_e32 v3, 0x3ff00000
	v_readlane_b32 s2, v187, 28
	s_mov_b32 s3, 1
	s_mov_b32 s1, 0
	s_branch .LBB0_238
.LBB0_237:                              ;   in Loop: Header=BB0_238 Depth=2
	s_or_b32 exec_lo, exec_lo, s4
	v_add_f64 v[2:3], v[2:3], 1.0
	v_cmp_eq_u32_e32 vcc_lo, s3, v186
	s_add_i32 s3, s3, 1
	s_add_i32 s2, s2, 56
	s_or_b32 s1, vcc_lo, s1
	s_delay_alu instid0(SALU_CYCLE_1)
	s_and_not1_b32 exec_lo, exec_lo, s1
	s_cbranch_execz .LBB0_241
.LBB0_238:                              ;   Parent Loop BB0_225 Depth=1
                                        ; =>  This Loop Header: Depth=2
                                        ;       Child Loop BB0_240 Depth 3
	s_mul_i32 s4, s3, 56
	s_add_i32 s5, s33, 0x1b0
	s_delay_alu instid0(VALU_DEP_2)
	v_mul_f64 v[4:5], v[184:185], v[2:3]
	s_add_i32 s4, s4, s5
	s_clause 0x1
	scratch_load_b64 v[8:9], off, s4
	scratch_load_b64 v[6:7], off, s4 offset:-56
	s_waitcnt vmcnt(1)
	v_mul_f64 v[10:11], v[0:1], v[8:9]
	s_waitcnt vmcnt(0)
	s_delay_alu instid0(VALU_DEP_1)
	v_fma_f64 v[6:7], v[6:7], v[4:5], v[10:11]
	scratch_store_b64 off, v[6:7], s4 offset:8
	s_and_saveexec_b32 s4, s8
	s_cbranch_execz .LBB0_237
; %bb.239:                              ;   in Loop: Header=BB0_238 Depth=2
	s_mov_b32 s5, 1
	s_mov_b32 s6, 0
	;; [unrolled: 1-line block ×3, first 2 shown]
	.p2align	6
.LBB0_240:                              ;   Parent Loop BB0_225 Depth=1
                                        ;     Parent Loop BB0_238 Depth=2
                                        ; =>    This Inner Loop Header: Depth=3
	scratch_load_b64 v[10:11], off, s7 offset:-64
	v_cvt_f64_i32_e32 v[12:13], s5
	s_add_i32 s5, s5, 1
	s_delay_alu instid0(SALU_CYCLE_1) | instskip(NEXT) | instid1(VALU_DEP_2)
	v_cmp_eq_u32_e32 vcc_lo, s5, v47
	v_mul_f64 v[12:13], v[90:91], v[12:13]
	s_delay_alu instid0(VALU_DEP_1) | instskip(SKIP_1) | instid1(VALU_DEP_1)
	v_mul_f64 v[8:9], v[8:9], v[12:13]
	s_waitcnt vmcnt(0)
	v_fma_f64 v[8:9], v[4:5], v[10:11], v[8:9]
	v_dual_mov_b32 v11, v7 :: v_dual_mov_b32 v10, v6
	s_delay_alu instid0(VALU_DEP_1) | instskip(SKIP_4) | instid1(SALU_CYCLE_1)
	v_fma_f64 v[6:7], v[0:1], v[10:11], v[8:9]
	v_dual_mov_b32 v8, v10 :: v_dual_mov_b32 v9, v11
	scratch_store_b64 off, v[6:7], s7
	s_add_i32 s7, s7, 8
	s_or_b32 s6, vcc_lo, s6
	s_and_not1_b32 exec_lo, exec_lo, s6
	s_cbranch_execnz .LBB0_240
	s_branch .LBB0_237
.LBB0_241:                              ;   in Loop: Header=BB0_225 Depth=1
	s_or_b32 exec_lo, exec_lo, s0
	v_mov_b32_e32 v174, 0
	v_mov_b32_e32 v175, 0
	s_mov_b32 s39, exec_lo
	v_readlane_b32 s0, v187, 5
	s_delay_alu instid0(VALU_DEP_1) | instskip(NEXT) | instid1(SALU_CYCLE_1)
	s_and_b32 s0, s39, s0
	s_mov_b32 exec_lo, s0
	s_cbranch_execz .LBB0_249
; %bb.242:                              ;   in Loop: Header=BB0_225 Depth=1
	scratch_load_b32 v88, off, s33 offset:912 ; 4-byte Folded Reload
	v_mov_b32_e32 v78, 0
	v_mov_b32_e32 v79, 0
	s_mov_b32 s104, 0
	s_mov_b32 s65, 0
	s_delay_alu instid0(VALU_DEP_1)
	v_dual_mov_b32 v175, v79 :: v_dual_mov_b32 v174, v78
	s_branch .LBB0_244
.LBB0_243:                              ;   in Loop: Header=BB0_244 Depth=2
	s_or_b32 exec_lo, exec_lo, s67
	v_mov_b32_e32 v31, v40
	v_dual_mov_b32 v0, v44 :: v_dual_mov_b32 v1, s65
	s_mov_b64 s[4:5], s[22:23]
	s_mov_b64 s[6:7], s[24:25]
	;; [unrolled: 1-line block ×3, first 2 shown]
	s_mov_b32 s12, s72
	s_mov_b32 s13, s76
	;; [unrolled: 1-line block ×3, first 2 shown]
	s_getpc_b64 s[0:1]
	s_add_u32 s0, s0, _Z13cuda_binomialii@rel32@lo+4
	s_addc_u32 s1, s1, _Z13cuda_binomialii@rel32@hi+12
	s_delay_alu instid0(SALU_CYCLE_1)
	s_swappc_b64 s[30:31], s[0:1]
	v_subrev_nc_u32_e32 v1, s65, v44
	v_readlane_b32 s0, v187, 24
	s_mov_b32 s100, s34
	s_mov_b32 s72, s74
	;; [unrolled: 1-line block ×3, first 2 shown]
	v_cvt_f64_i32_e32 v[1:2], v1
	v_readlane_b32 s10, v187, 2
	v_readlane_b32 s24, v187, 0
	;; [unrolled: 1-line block ×4, first 2 shown]
	v_add_nc_u32_e32 v88, 8, v88
	s_mov_b64 s[22:23], s[40:41]
	s_mov_b64 s[26:27], s[44:45]
	s_mov_b32 s14, s36
	v_cndmask_b32_e64 v2, v2, 0x3ff00000, s0
	v_cndmask_b32_e64 v1, v1, 0, s0
	s_delay_alu instid0(VALU_DEP_1) | instskip(SKIP_2) | instid1(VALU_DEP_1)
	v_cmp_eq_f64_e32 vcc_lo, 0, v[1:2]
	v_cndmask_b32_e64 v4, v140, 0x3ff00000, vcc_lo
	v_cndmask_b32_e64 v3, v141, 0, vcc_lo
	v_frexp_mant_f64_e32 v[5:6], v[3:4]
	v_cmp_eq_f64_e64 s4, 0x7ff00000, v[3:4]
	s_delay_alu instid0(VALU_DEP_2) | instskip(NEXT) | instid1(VALU_DEP_1)
	v_cmp_gt_f64_e64 s0, s[34:35], v[5:6]
	v_cndmask_b32_e64 v173, 0x3ff00000, 2.0, s0
	s_delay_alu instid0(VALU_DEP_1) | instskip(NEXT) | instid1(VALU_DEP_1)
	v_mul_f64 v[5:6], v[5:6], v[172:173]
	v_add_f64 v[7:8], v[5:6], 1.0
	s_delay_alu instid0(VALU_DEP_1) | instskip(SKIP_2) | instid1(VALU_DEP_1)
	v_rcp_f64_e32 v[9:10], v[7:8]
	s_waitcnt_depctr 0xfff
	v_fma_f64 v[11:12], -v[7:8], v[9:10], 1.0
	v_fma_f64 v[9:10], v[11:12], v[9:10], v[9:10]
	s_delay_alu instid0(VALU_DEP_1) | instskip(NEXT) | instid1(VALU_DEP_1)
	v_fma_f64 v[11:12], -v[7:8], v[9:10], 1.0
	v_fma_f64 v[9:10], v[11:12], v[9:10], v[9:10]
	v_add_f64 v[11:12], v[7:8], -1.0
	s_delay_alu instid0(VALU_DEP_1) | instskip(SKIP_1) | instid1(VALU_DEP_1)
	v_add_f64 v[11:12], v[5:6], -v[11:12]
	v_add_f64 v[5:6], v[5:6], -1.0
	v_mul_f64 v[13:14], v[5:6], v[9:10]
	s_delay_alu instid0(VALU_DEP_1) | instskip(NEXT) | instid1(VALU_DEP_1)
	v_mul_f64 v[15:16], v[7:8], v[13:14]
	v_fma_f64 v[7:8], v[13:14], v[7:8], -v[15:16]
	s_delay_alu instid0(VALU_DEP_1) | instskip(NEXT) | instid1(VALU_DEP_1)
	v_fma_f64 v[7:8], v[13:14], v[11:12], v[7:8]
	v_add_f64 v[11:12], v[15:16], v[7:8]
	s_delay_alu instid0(VALU_DEP_1) | instskip(NEXT) | instid1(VALU_DEP_1)
	v_add_f64 v[15:16], v[11:12], -v[15:16]
	v_add_f64 v[7:8], v[15:16], -v[7:8]
	;; [unrolled: 1-line block ×3, first 2 shown]
	s_delay_alu instid0(VALU_DEP_1) | instskip(NEXT) | instid1(VALU_DEP_1)
	v_add_f64 v[5:6], v[5:6], -v[15:16]
	v_add_f64 v[5:6], v[5:6], -v[11:12]
	s_delay_alu instid0(VALU_DEP_1) | instskip(NEXT) | instid1(VALU_DEP_1)
	v_add_f64 v[5:6], v[7:8], v[5:6]
	v_add_f64 v[5:6], v[15:16], v[5:6]
	s_delay_alu instid0(VALU_DEP_1) | instskip(NEXT) | instid1(VALU_DEP_1)
	v_mul_f64 v[5:6], v[9:10], v[5:6]
	v_add_f64 v[7:8], v[13:14], v[5:6]
	s_delay_alu instid0(VALU_DEP_1) | instskip(NEXT) | instid1(VALU_DEP_1)
	v_add_f64 v[9:10], v[7:8], -v[13:14]
	v_add_f64 v[5:6], v[5:6], -v[9:10]
	v_mul_f64 v[9:10], v[7:8], v[7:8]
	s_delay_alu instid0(VALU_DEP_2) | instskip(NEXT) | instid1(VALU_DEP_2)
	v_add_f64 v[13:14], v[5:6], v[5:6]
	v_fma_f64 v[11:12], v[7:8], v[7:8], -v[9:10]
	s_delay_alu instid0(VALU_DEP_1) | instskip(NEXT) | instid1(VALU_DEP_1)
	v_fma_f64 v[11:12], v[7:8], v[13:14], v[11:12]
	v_add_f64 v[13:14], v[9:10], v[11:12]
	s_delay_alu instid0(VALU_DEP_1) | instskip(NEXT) | instid1(VALU_DEP_1)
	v_add_f64 v[9:10], v[13:14], -v[9:10]
	v_add_f64 v[9:10], v[11:12], -v[9:10]
	v_fma_f64 v[11:12], v[13:14], s[52:53], s[102:103]
	s_delay_alu instid0(VALU_DEP_1) | instskip(NEXT) | instid1(VALU_DEP_1)
	v_fma_f64 v[11:12], v[13:14], v[11:12], s[56:57]
	v_fma_f64 v[11:12], v[13:14], v[11:12], s[60:61]
	s_delay_alu instid0(VALU_DEP_1) | instskip(NEXT) | instid1(VALU_DEP_1)
	v_fma_f64 v[11:12], v[13:14], v[11:12], s[46:47]
	;; [unrolled: 3-line block ×4, first 2 shown]
	v_mul_f64 v[15:16], v[13:14], v[11:12]
	s_delay_alu instid0(VALU_DEP_1) | instskip(NEXT) | instid1(VALU_DEP_1)
	v_fma_f64 v[17:18], v[13:14], v[11:12], -v[15:16]
	v_fma_f64 v[11:12], v[9:10], v[11:12], v[17:18]
	v_mul_f64 v[17:18], v[7:8], v[13:14]
	s_delay_alu instid0(VALU_DEP_1) | instskip(NEXT) | instid1(VALU_DEP_1)
	v_fma_f64 v[19:20], v[13:14], v[7:8], -v[17:18]
	v_fma_f64 v[13:14], v[13:14], v[5:6], v[19:20]
	s_delay_alu instid0(VALU_DEP_4) | instskip(SKIP_1) | instid1(VALU_DEP_3)
	v_add_f64 v[19:20], v[15:16], v[11:12]
	v_ldexp_f64 v[5:6], v[5:6], 1
	v_fma_f64 v[9:10], v[9:10], v[7:8], v[13:14]
	s_delay_alu instid0(VALU_DEP_3) | instskip(SKIP_1) | instid1(VALU_DEP_2)
	v_add_f64 v[15:16], v[19:20], -v[15:16]
	v_ldexp_f64 v[7:8], v[7:8], 1
	v_add_f64 v[11:12], v[11:12], -v[15:16]
	v_add_f64 v[15:16], v[19:20], s[34:35]
	s_delay_alu instid0(VALU_DEP_2) | instskip(NEXT) | instid1(VALU_DEP_2)
	v_add_f64 v[11:12], v[11:12], s[62:63]
	v_add_f64 v[21:22], v[15:16], s[100:101]
	s_delay_alu instid0(VALU_DEP_1) | instskip(NEXT) | instid1(VALU_DEP_1)
	v_add_f64 v[19:20], v[19:20], -v[21:22]
	v_add_f64 v[11:12], v[11:12], v[19:20]
	s_delay_alu instid0(VALU_DEP_1) | instskip(NEXT) | instid1(VALU_DEP_1)
	v_add_f64 v[13:14], v[15:16], v[11:12]
	v_add_f64 v[15:16], v[15:16], -v[13:14]
	s_delay_alu instid0(VALU_DEP_1) | instskip(SKIP_1) | instid1(VALU_DEP_1)
	v_add_f64 v[11:12], v[11:12], v[15:16]
	v_add_f64 v[15:16], v[17:18], v[9:10]
	v_mul_f64 v[19:20], v[15:16], v[13:14]
	s_delay_alu instid0(VALU_DEP_1) | instskip(NEXT) | instid1(VALU_DEP_1)
	v_fma_f64 v[21:22], v[15:16], v[13:14], -v[19:20]
	v_fma_f64 v[11:12], v[15:16], v[11:12], v[21:22]
	v_add_f64 v[15:16], v[15:16], -v[17:18]
	s_delay_alu instid0(VALU_DEP_1) | instskip(NEXT) | instid1(VALU_DEP_1)
	v_add_f64 v[9:10], v[9:10], -v[15:16]
	v_fma_f64 v[9:10], v[9:10], v[13:14], v[11:12]
	v_mul_f64 v[11:12], v[1:2], 0.5
	s_delay_alu instid0(VALU_DEP_1) | instskip(NEXT) | instid1(VALU_DEP_1)
	v_trunc_f64_e32 v[13:14], v[11:12]
	v_cmp_neq_f64_e64 s1, v[13:14], v[11:12]
	s_delay_alu instid0(VALU_DEP_4) | instskip(NEXT) | instid1(VALU_DEP_1)
	v_add_f64 v[11:12], v[19:20], v[9:10]
	v_add_f64 v[13:14], v[11:12], -v[19:20]
	s_delay_alu instid0(VALU_DEP_1) | instskip(SKIP_1) | instid1(VALU_DEP_2)
	v_add_f64 v[9:10], v[9:10], -v[13:14]
	v_add_f64 v[13:14], v[7:8], v[11:12]
	v_add_f64 v[5:6], v[5:6], v[9:10]
	v_frexp_exp_i32_f64_e32 v9, v[3:4]
	s_delay_alu instid0(VALU_DEP_3) | instskip(NEXT) | instid1(VALU_DEP_2)
	v_add_f64 v[7:8], v[13:14], -v[7:8]
	v_subrev_co_ci_u32_e64 v9, s0, 0, v9, s0
	s_delay_alu instid0(VALU_DEP_2) | instskip(NEXT) | instid1(VALU_DEP_2)
	v_add_f64 v[7:8], v[11:12], -v[7:8]
	v_cvt_f64_i32_e32 v[9:10], v9
	s_delay_alu instid0(VALU_DEP_2) | instskip(NEXT) | instid1(VALU_DEP_2)
	v_add_f64 v[5:6], v[5:6], v[7:8]
	v_mul_f64 v[11:12], v[9:10], s[74:75]
	s_delay_alu instid0(VALU_DEP_1) | instskip(NEXT) | instid1(VALU_DEP_1)
	v_fma_f64 v[15:16], v[9:10], s[74:75], -v[11:12]
	v_fma_f64 v[9:10], v[9:10], s[78:79], v[15:16]
	s_delay_alu instid0(VALU_DEP_1) | instskip(NEXT) | instid1(VALU_DEP_1)
	v_add_f64 v[7:8], v[11:12], v[9:10]
	v_add_f64 v[11:12], v[7:8], -v[11:12]
	s_delay_alu instid0(VALU_DEP_1) | instskip(SKIP_1) | instid1(VALU_DEP_1)
	v_add_f64 v[9:10], v[9:10], -v[11:12]
	v_add_f64 v[11:12], v[13:14], v[5:6]
	v_add_f64 v[15:16], v[7:8], v[11:12]
	v_add_f64 v[13:14], v[11:12], -v[13:14]
	s_delay_alu instid0(VALU_DEP_2) | instskip(NEXT) | instid1(VALU_DEP_2)
	v_add_f64 v[17:18], v[15:16], -v[7:8]
	v_add_f64 v[5:6], v[5:6], -v[13:14]
	s_delay_alu instid0(VALU_DEP_2) | instskip(SKIP_1) | instid1(VALU_DEP_1)
	v_add_f64 v[11:12], v[11:12], -v[17:18]
	v_add_f64 v[17:18], v[15:16], -v[17:18]
	v_add_f64 v[7:8], v[7:8], -v[17:18]
	s_delay_alu instid0(VALU_DEP_1) | instskip(SKIP_1) | instid1(VALU_DEP_1)
	v_add_f64 v[7:8], v[11:12], v[7:8]
	v_add_f64 v[11:12], v[9:10], v[5:6]
	v_add_f64 v[13:14], v[11:12], -v[9:10]
	s_delay_alu instid0(VALU_DEP_3) | instskip(NEXT) | instid1(VALU_DEP_2)
	v_add_f64 v[7:8], v[11:12], v[7:8]
	v_add_f64 v[5:6], v[5:6], -v[13:14]
	v_add_f64 v[13:14], v[11:12], -v[13:14]
	s_delay_alu instid0(VALU_DEP_1) | instskip(NEXT) | instid1(VALU_DEP_1)
	v_add_f64 v[9:10], v[9:10], -v[13:14]
	v_add_f64 v[5:6], v[5:6], v[9:10]
	v_add_f64 v[9:10], v[15:16], v[7:8]
	s_delay_alu instid0(VALU_DEP_1) | instskip(NEXT) | instid1(VALU_DEP_1)
	v_add_f64 v[11:12], v[9:10], -v[15:16]
	v_add_f64 v[7:8], v[7:8], -v[11:12]
	s_delay_alu instid0(VALU_DEP_1) | instskip(NEXT) | instid1(VALU_DEP_1)
	v_add_f64 v[5:6], v[5:6], v[7:8]
	v_add_f64 v[7:8], v[9:10], v[5:6]
	s_delay_alu instid0(VALU_DEP_1) | instskip(NEXT) | instid1(VALU_DEP_1)
	v_add_f64 v[9:10], v[7:8], -v[9:10]
	v_add_f64 v[5:6], v[5:6], -v[9:10]
	v_mul_f64 v[9:10], v[1:2], v[7:8]
	s_delay_alu instid0(VALU_DEP_1) | instskip(SKIP_1) | instid1(VALU_DEP_2)
	v_fma_f64 v[7:8], v[1:2], v[7:8], -v[9:10]
	v_cmp_class_f64_e64 s0, v[9:10], 0x204
	v_fma_f64 v[5:6], v[1:2], v[5:6], v[7:8]
	s_delay_alu instid0(VALU_DEP_1) | instskip(NEXT) | instid1(VALU_DEP_1)
	v_add_f64 v[7:8], v[9:10], v[5:6]
	v_cndmask_b32_e64 v12, v8, v10, s0
	s_delay_alu instid0(VALU_DEP_2) | instskip(SKIP_1) | instid1(VALU_DEP_2)
	v_cndmask_b32_e64 v11, v7, v9, s0
	v_add_f64 v[7:8], v[7:8], -v[9:10]
	v_cmp_neq_f64_e64 s0, 0x7ff00000, |v[11:12]|
	v_cmp_lt_f64_e64 s2, 0x40900000, v[11:12]
	v_cmp_ngt_f64_e64 s3, 0xc090cc00, v[11:12]
	s_delay_alu instid0(VALU_DEP_4) | instskip(SKIP_1) | instid1(VALU_DEP_2)
	v_add_f64 v[5:6], v[5:6], -v[7:8]
	v_mul_f64 v[7:8], v[11:12], s[70:71]
	v_cndmask_b32_e64 v3, 0, v5, s0
	s_delay_alu instid0(VALU_DEP_2) | instskip(NEXT) | instid1(VALU_DEP_4)
	v_rndne_f64_e32 v[7:8], v[7:8]
	v_cndmask_b32_e64 v4, 0, v6, s0
	s_delay_alu instid0(VALU_DEP_2) | instskip(SKIP_1) | instid1(VALU_DEP_1)
	v_fma_f64 v[9:10], v[7:8], s[72:73], v[11:12]
	s_mov_b32 s72, s37
	v_fma_f64 v[9:10], v[7:8], s[76:77], v[9:10]
	v_cvt_i32_f64_e32 v7, v[7:8]
	s_mov_b32 s76, s38
	s_delay_alu instid0(VALU_DEP_2) | instskip(NEXT) | instid1(VALU_DEP_1)
	v_fma_f64 v[13:14], v[9:10], s[82:83], s[80:81]
	v_fma_f64 v[13:14], v[9:10], v[13:14], s[84:85]
	s_delay_alu instid0(VALU_DEP_1) | instskip(NEXT) | instid1(VALU_DEP_1)
	v_fma_f64 v[13:14], v[9:10], v[13:14], s[86:87]
	v_fma_f64 v[13:14], v[9:10], v[13:14], s[88:89]
	s_delay_alu instid0(VALU_DEP_1) | instskip(NEXT) | instid1(VALU_DEP_1)
	;; [unrolled: 3-line block ×4, first 2 shown]
	v_fma_f64 v[13:14], v[9:10], v[13:14], s[98:99]
	v_fma_f64 v[13:14], v[9:10], v[13:14], 1.0
	s_delay_alu instid0(VALU_DEP_1) | instskip(NEXT) | instid1(VALU_DEP_1)
	v_fma_f64 v[9:10], v[9:10], v[13:14], 1.0
	v_ldexp_f64 v[7:8], v[9:10], v7
	s_delay_alu instid0(VALU_DEP_1) | instskip(NEXT) | instid1(VALU_DEP_2)
	v_cndmask_b32_e64 v9, v8, 0x7ff00000, s2
	v_cndmask_b32_e64 v5, v7, 0, s2
	v_and_b32_e32 v8, 0x7fffffff, v8
	s_delay_alu instid0(VALU_DEP_3) | instskip(NEXT) | instid1(VALU_DEP_3)
	v_cndmask_b32_e64 v6, 0, v9, s3
	v_cndmask_b32_e64 v5, 0, v5, s3
	s_delay_alu instid0(VALU_DEP_3) | instskip(NEXT) | instid1(VALU_DEP_2)
	v_cmp_eq_f64_e64 s0, 0x7ff00000, v[7:8]
	v_fma_f64 v[3:4], v[5:6], v[3:4], v[5:6]
	s_delay_alu instid0(VALU_DEP_2)
	s_or_b32 s0, s2, s0
	v_cmp_gt_f64_e64 s2, 0, v[1:2]
	s_and_b32 s0, s3, s0
	s_delay_alu instid0(VALU_DEP_2) | instid1(SALU_CYCLE_1)
	v_cndmask_b32_e64 v6, v4, v6, s0
	s_delay_alu instid0(VALU_DEP_3) | instskip(SKIP_1) | instid1(VALU_DEP_1)
	v_cndmask_b32_e64 v5, v3, v5, s0
	v_trunc_f64_e32 v[3:4], v[1:2]
	v_cmp_eq_f64_e64 s0, v[3:4], v[1:2]
	v_cndmask_b32_e64 v4, v57, 0x3ff00000, vcc_lo
	v_cndmask_b32_e64 v3, v56, 0, vcc_lo
	s_delay_alu instid0(VALU_DEP_1) | instskip(SKIP_4) | instid1(SALU_CYCLE_1)
	v_cmp_gt_f64_e64 s3, 0, v[3:4]
	v_cmp_eq_f64_e32 vcc_lo, 0, v[3:4]
	v_cmp_o_f64_e64 s5, v[3:4], v[3:4]
	v_cndmask_b32_e64 v1, 0, v5, s0
	s_and_b32 s1, s0, s1
	v_cndmask_b32_e64 v3, 0x3ff00000, v4, s1
	v_cndmask_b32_e64 v4, 0, v4, s1
	s_delay_alu instid0(VALU_DEP_3) | instskip(SKIP_1) | instid1(VALU_DEP_3)
	v_cndmask_b32_e64 v1, v5, v1, s3
	s_or_b32 s4, s4, vcc_lo
	v_bfi_b32 v3, 0x7fffffff, v6, v3
	s_xor_b32 s2, s2, vcc_lo
	v_cmp_eq_u32_e32 vcc_lo, s65, v44
	v_cndmask_b32_e64 v2, v1, 0, s4
	v_cvt_f64_i32_e32 v[0:1], v0
	v_cndmask_b32_e64 v5, 0x7ff00000, 0, s2
	v_cndmask_b32_e64 v6, 0x7ff80000, v3, s0
	s_add_i32 s65, s65, 1
	v_cndmask_b32_e64 v2, 0, v2, s5
	s_or_b32 s104, vcc_lo, s104
	v_bfi_b32 v4, 0x7fffffff, v5, v4
	v_cndmask_b32_e64 v3, v3, v6, s3
	s_delay_alu instid0(VALU_DEP_1) | instskip(NEXT) | instid1(VALU_DEP_1)
	v_cndmask_b32_e64 v3, v3, v4, s4
	v_cndmask_b32_e64 v3, 0x7ff80000, v3, s5
	s_delay_alu instid0(VALU_DEP_1) | instskip(NEXT) | instid1(VALU_DEP_1)
	v_mul_f64 v[0:1], v[2:3], v[0:1]
	v_fma_f64 v[174:175], v[74:75], v[0:1], v[174:175]
	s_and_not1_b32 exec_lo, exec_lo, s104
	s_cbranch_execz .LBB0_248
.LBB0_244:                              ;   Parent Loop BB0_225 Depth=1
                                        ; =>  This Loop Header: Depth=2
                                        ;       Child Loop BB0_246 Depth 3
	v_dual_mov_b32 v74, v78 :: v_dual_mov_b32 v75, v79
	s_mov_b32 s67, exec_lo
	v_readlane_b32 s0, v187, 6
	s_delay_alu instid0(VALU_DEP_1) | instskip(NEXT) | instid1(SALU_CYCLE_1)
	s_and_b32 s0, s67, s0
	s_mov_b32 exec_lo, s0
	s_cbranch_execz .LBB0_243
; %bb.245:                              ;   in Loop: Header=BB0_244 Depth=2
	s_waitcnt vmcnt(0)
	v_dual_mov_b32 v74, 0 :: v_dual_mov_b32 v89, v88
	v_dual_mov_b32 v75, 0 :: v_dual_mov_b32 v104, v41
	s_mov_b32 s69, 0
	s_mov_b32 s42, 0
.LBB0_246:                              ;   Parent Loop BB0_225 Depth=1
                                        ;     Parent Loop BB0_244 Depth=2
                                        ; =>    This Inner Loop Header: Depth=3
	v_dual_mov_b32 v31, v40 :: v_dual_mov_b32 v0, v41
	v_mov_b32_e32 v1, s42
	s_mov_b64 s[4:5], s[22:23]
	s_mov_b64 s[6:7], s[24:25]
	;; [unrolled: 1-line block ×3, first 2 shown]
	s_mov_b32 s12, s72
	s_mov_b32 s13, s76
	;; [unrolled: 1-line block ×3, first 2 shown]
	s_getpc_b64 s[0:1]
	s_add_u32 s0, s0, _Z13cuda_binomialii@rel32@lo+4
	s_addc_u32 s1, s1, _Z13cuda_binomialii@rel32@hi+12
	s_delay_alu instid0(SALU_CYCLE_1)
	s_swappc_b64 s[30:31], s[0:1]
	v_cvt_f64_i32_e32 v[1:2], v104
	s_mov_b32 s100, s34
	s_mov_b32 s72, s74
	;; [unrolled: 1-line block ×3, first 2 shown]
	v_add_nc_u32_e32 v104, -1, v104
	v_readlane_b32 s10, v187, 2
	v_readlane_b32 s24, v187, 0
	v_readlane_b32 s11, v187, 3
	v_readlane_b32 s25, v187, 1
	s_add_i32 s42, s42, 1
	s_mov_b64 s[22:23], s[40:41]
	s_mov_b64 s[26:27], s[44:45]
	s_mov_b32 s14, s36
	v_cndmask_b32_e64 v2, v2, 0x3ff00000, s64
	v_cndmask_b32_e64 v1, v1, 0, s64
	s_delay_alu instid0(VALU_DEP_1) | instskip(SKIP_1) | instid1(VALU_DEP_2)
	v_mul_f64 v[3:4], v[1:2], 0.5
	v_cmp_eq_f64_e64 s0, 0, v[1:2]
	v_trunc_f64_e32 v[7:8], v[3:4]
	s_delay_alu instid0(VALU_DEP_2) | instskip(SKIP_1) | instid1(VALU_DEP_1)
	v_cndmask_b32_e64 v6, v138, 0x3ff00000, s0
	v_cndmask_b32_e64 v5, v139, 0, s0
	v_cmp_eq_f64_e64 s4, 0x7ff00000, v[5:6]
	s_delay_alu instid0(VALU_DEP_4) | instskip(SKIP_1) | instid1(VALU_DEP_1)
	v_cmp_neq_f64_e32 vcc_lo, v[7:8], v[3:4]
	v_frexp_mant_f64_e32 v[3:4], v[5:6]
	v_cmp_gt_f64_e64 s1, s[34:35], v[3:4]
	s_delay_alu instid0(VALU_DEP_1) | instskip(NEXT) | instid1(VALU_DEP_1)
	v_cndmask_b32_e64 v173, 0x3ff00000, 2.0, s1
	v_mul_f64 v[3:4], v[3:4], v[172:173]
	s_delay_alu instid0(VALU_DEP_1) | instskip(NEXT) | instid1(VALU_DEP_1)
	v_add_f64 v[7:8], v[3:4], 1.0
	v_rcp_f64_e32 v[9:10], v[7:8]
	s_waitcnt_depctr 0xfff
	v_fma_f64 v[11:12], -v[7:8], v[9:10], 1.0
	s_delay_alu instid0(VALU_DEP_1) | instskip(NEXT) | instid1(VALU_DEP_1)
	v_fma_f64 v[9:10], v[11:12], v[9:10], v[9:10]
	v_fma_f64 v[11:12], -v[7:8], v[9:10], 1.0
	s_delay_alu instid0(VALU_DEP_1) | instskip(SKIP_1) | instid1(VALU_DEP_1)
	v_fma_f64 v[9:10], v[11:12], v[9:10], v[9:10]
	v_add_f64 v[11:12], v[7:8], -1.0
	v_add_f64 v[11:12], v[3:4], -v[11:12]
	v_add_f64 v[3:4], v[3:4], -1.0
	s_delay_alu instid0(VALU_DEP_1) | instskip(NEXT) | instid1(VALU_DEP_1)
	v_mul_f64 v[13:14], v[3:4], v[9:10]
	v_mul_f64 v[15:16], v[7:8], v[13:14]
	s_delay_alu instid0(VALU_DEP_1) | instskip(NEXT) | instid1(VALU_DEP_1)
	v_fma_f64 v[7:8], v[13:14], v[7:8], -v[15:16]
	v_fma_f64 v[7:8], v[13:14], v[11:12], v[7:8]
	s_delay_alu instid0(VALU_DEP_1) | instskip(NEXT) | instid1(VALU_DEP_1)
	v_add_f64 v[11:12], v[15:16], v[7:8]
	v_add_f64 v[15:16], v[11:12], -v[15:16]
	s_delay_alu instid0(VALU_DEP_1) | instskip(SKIP_1) | instid1(VALU_DEP_1)
	v_add_f64 v[7:8], v[15:16], -v[7:8]
	v_add_f64 v[15:16], v[3:4], -v[11:12]
	;; [unrolled: 1-line block ×3, first 2 shown]
	s_delay_alu instid0(VALU_DEP_1) | instskip(NEXT) | instid1(VALU_DEP_1)
	v_add_f64 v[3:4], v[3:4], -v[11:12]
	v_add_f64 v[3:4], v[7:8], v[3:4]
	s_delay_alu instid0(VALU_DEP_1) | instskip(NEXT) | instid1(VALU_DEP_1)
	v_add_f64 v[3:4], v[15:16], v[3:4]
	v_mul_f64 v[3:4], v[9:10], v[3:4]
	s_delay_alu instid0(VALU_DEP_1) | instskip(NEXT) | instid1(VALU_DEP_1)
	v_add_f64 v[7:8], v[13:14], v[3:4]
	v_add_f64 v[9:10], v[7:8], -v[13:14]
	s_delay_alu instid0(VALU_DEP_1) | instskip(SKIP_1) | instid1(VALU_DEP_2)
	v_add_f64 v[3:4], v[3:4], -v[9:10]
	v_mul_f64 v[9:10], v[7:8], v[7:8]
	v_add_f64 v[13:14], v[3:4], v[3:4]
	s_delay_alu instid0(VALU_DEP_2) | instskip(NEXT) | instid1(VALU_DEP_1)
	v_fma_f64 v[11:12], v[7:8], v[7:8], -v[9:10]
	v_fma_f64 v[11:12], v[7:8], v[13:14], v[11:12]
	s_delay_alu instid0(VALU_DEP_1) | instskip(NEXT) | instid1(VALU_DEP_1)
	v_add_f64 v[13:14], v[9:10], v[11:12]
	v_add_f64 v[9:10], v[13:14], -v[9:10]
	v_mul_f64 v[15:16], v[7:8], v[13:14]
	s_delay_alu instid0(VALU_DEP_2) | instskip(SKIP_1) | instid1(VALU_DEP_3)
	v_add_f64 v[9:10], v[11:12], -v[9:10]
	v_fma_f64 v[11:12], v[13:14], s[52:53], s[102:103]
	v_fma_f64 v[17:18], v[13:14], v[7:8], -v[15:16]
	s_delay_alu instid0(VALU_DEP_2) | instskip(NEXT) | instid1(VALU_DEP_2)
	v_fma_f64 v[11:12], v[13:14], v[11:12], s[56:57]
	v_fma_f64 v[17:18], v[13:14], v[3:4], v[17:18]
	v_ldexp_f64 v[3:4], v[3:4], 1
	s_delay_alu instid0(VALU_DEP_3) | instskip(NEXT) | instid1(VALU_DEP_1)
	v_fma_f64 v[11:12], v[13:14], v[11:12], s[60:61]
	v_fma_f64 v[11:12], v[13:14], v[11:12], s[46:47]
	s_delay_alu instid0(VALU_DEP_1) | instskip(NEXT) | instid1(VALU_DEP_1)
	v_fma_f64 v[11:12], v[13:14], v[11:12], s[48:49]
	v_fma_f64 v[11:12], v[13:14], v[11:12], s[50:51]
	s_delay_alu instid0(VALU_DEP_1) | instskip(NEXT) | instid1(VALU_DEP_1)
	;; [unrolled: 3-line block ×3, first 2 shown]
	v_mul_f64 v[19:20], v[13:14], v[11:12]
	v_fma_f64 v[13:14], v[13:14], v[11:12], -v[19:20]
	s_delay_alu instid0(VALU_DEP_1) | instskip(SKIP_2) | instid1(VALU_DEP_3)
	v_fma_f64 v[11:12], v[9:10], v[11:12], v[13:14]
	v_fma_f64 v[9:10], v[9:10], v[7:8], v[17:18]
	v_ldexp_f64 v[7:8], v[7:8], 1
	v_add_f64 v[13:14], v[19:20], v[11:12]
	s_delay_alu instid0(VALU_DEP_1) | instskip(NEXT) | instid1(VALU_DEP_1)
	v_add_f64 v[17:18], v[13:14], -v[19:20]
	v_add_f64 v[11:12], v[11:12], -v[17:18]
	v_add_f64 v[17:18], v[13:14], s[34:35]
	s_delay_alu instid0(VALU_DEP_2) | instskip(NEXT) | instid1(VALU_DEP_2)
	v_add_f64 v[11:12], v[11:12], s[62:63]
	v_add_f64 v[19:20], v[17:18], s[100:101]
	s_delay_alu instid0(VALU_DEP_1) | instskip(NEXT) | instid1(VALU_DEP_1)
	v_add_f64 v[13:14], v[13:14], -v[19:20]
	v_add_f64 v[11:12], v[11:12], v[13:14]
	s_delay_alu instid0(VALU_DEP_1) | instskip(NEXT) | instid1(VALU_DEP_1)
	v_add_f64 v[13:14], v[17:18], v[11:12]
	v_add_f64 v[17:18], v[17:18], -v[13:14]
	s_delay_alu instid0(VALU_DEP_1) | instskip(SKIP_1) | instid1(VALU_DEP_1)
	v_add_f64 v[11:12], v[11:12], v[17:18]
	v_add_f64 v[17:18], v[15:16], v[9:10]
	v_mul_f64 v[19:20], v[17:18], v[13:14]
	v_add_f64 v[15:16], v[17:18], -v[15:16]
	s_delay_alu instid0(VALU_DEP_2) | instskip(NEXT) | instid1(VALU_DEP_2)
	v_fma_f64 v[21:22], v[17:18], v[13:14], -v[19:20]
	v_add_f64 v[9:10], v[9:10], -v[15:16]
	s_delay_alu instid0(VALU_DEP_2) | instskip(NEXT) | instid1(VALU_DEP_1)
	v_fma_f64 v[11:12], v[17:18], v[11:12], v[21:22]
	v_fma_f64 v[9:10], v[9:10], v[13:14], v[11:12]
	v_frexp_exp_i32_f64_e32 v11, v[5:6]
	s_delay_alu instid0(VALU_DEP_1) | instskip(NEXT) | instid1(VALU_DEP_1)
	v_subrev_co_ci_u32_e64 v11, s1, 0, v11, s1
	v_cvt_f64_i32_e32 v[11:12], v11
	s_delay_alu instid0(VALU_DEP_1) | instskip(NEXT) | instid1(VALU_DEP_1)
	v_mul_f64 v[13:14], v[11:12], s[74:75]
	v_fma_f64 v[15:16], v[11:12], s[74:75], -v[13:14]
	s_delay_alu instid0(VALU_DEP_1) | instskip(NEXT) | instid1(VALU_DEP_1)
	v_fma_f64 v[11:12], v[11:12], s[78:79], v[15:16]
	v_add_f64 v[15:16], v[13:14], v[11:12]
	s_delay_alu instid0(VALU_DEP_1) | instskip(NEXT) | instid1(VALU_DEP_1)
	v_add_f64 v[13:14], v[15:16], -v[13:14]
	v_add_f64 v[11:12], v[11:12], -v[13:14]
	v_add_f64 v[13:14], v[19:20], v[9:10]
	s_delay_alu instid0(VALU_DEP_1) | instskip(NEXT) | instid1(VALU_DEP_1)
	v_add_f64 v[17:18], v[13:14], -v[19:20]
	v_add_f64 v[9:10], v[9:10], -v[17:18]
	v_add_f64 v[17:18], v[7:8], v[13:14]
	s_delay_alu instid0(VALU_DEP_2) | instskip(NEXT) | instid1(VALU_DEP_2)
	v_add_f64 v[3:4], v[3:4], v[9:10]
	v_add_f64 v[7:8], v[17:18], -v[7:8]
	s_delay_alu instid0(VALU_DEP_1) | instskip(NEXT) | instid1(VALU_DEP_1)
	v_add_f64 v[7:8], v[13:14], -v[7:8]
	v_add_f64 v[3:4], v[3:4], v[7:8]
	s_delay_alu instid0(VALU_DEP_1) | instskip(NEXT) | instid1(VALU_DEP_1)
	v_add_f64 v[7:8], v[17:18], v[3:4]
	v_add_f64 v[9:10], v[7:8], -v[17:18]
	s_delay_alu instid0(VALU_DEP_1) | instskip(SKIP_1) | instid1(VALU_DEP_1)
	v_add_f64 v[3:4], v[3:4], -v[9:10]
	v_add_f64 v[9:10], v[15:16], v[7:8]
	v_add_f64 v[13:14], v[9:10], -v[15:16]
	s_delay_alu instid0(VALU_DEP_1) | instskip(SKIP_1) | instid1(VALU_DEP_1)
	v_add_f64 v[7:8], v[7:8], -v[13:14]
	v_add_f64 v[13:14], v[9:10], -v[13:14]
	;; [unrolled: 1-line block ×3, first 2 shown]
	s_delay_alu instid0(VALU_DEP_1) | instskip(SKIP_1) | instid1(VALU_DEP_1)
	v_add_f64 v[7:8], v[7:8], v[13:14]
	v_add_f64 v[13:14], v[11:12], v[3:4]
	v_add_f64 v[15:16], v[13:14], -v[11:12]
	s_delay_alu instid0(VALU_DEP_3) | instskip(NEXT) | instid1(VALU_DEP_2)
	v_add_f64 v[7:8], v[13:14], v[7:8]
	v_add_f64 v[3:4], v[3:4], -v[15:16]
	v_add_f64 v[15:16], v[13:14], -v[15:16]
	s_delay_alu instid0(VALU_DEP_1) | instskip(NEXT) | instid1(VALU_DEP_1)
	v_add_f64 v[11:12], v[11:12], -v[15:16]
	v_add_f64 v[3:4], v[3:4], v[11:12]
	v_add_f64 v[11:12], v[9:10], v[7:8]
	s_delay_alu instid0(VALU_DEP_1) | instskip(NEXT) | instid1(VALU_DEP_1)
	v_add_f64 v[9:10], v[11:12], -v[9:10]
	v_add_f64 v[7:8], v[7:8], -v[9:10]
	s_delay_alu instid0(VALU_DEP_1) | instskip(NEXT) | instid1(VALU_DEP_1)
	v_add_f64 v[3:4], v[3:4], v[7:8]
	v_add_f64 v[7:8], v[11:12], v[3:4]
	s_delay_alu instid0(VALU_DEP_1) | instskip(NEXT) | instid1(VALU_DEP_1)
	v_add_f64 v[9:10], v[7:8], -v[11:12]
	v_add_f64 v[3:4], v[3:4], -v[9:10]
	v_mul_f64 v[9:10], v[1:2], v[7:8]
	s_delay_alu instid0(VALU_DEP_1) | instskip(SKIP_1) | instid1(VALU_DEP_2)
	v_fma_f64 v[7:8], v[1:2], v[7:8], -v[9:10]
	v_cmp_class_f64_e64 s1, v[9:10], 0x204
	v_fma_f64 v[3:4], v[1:2], v[3:4], v[7:8]
	s_delay_alu instid0(VALU_DEP_1) | instskip(NEXT) | instid1(VALU_DEP_1)
	v_add_f64 v[7:8], v[9:10], v[3:4]
	v_cndmask_b32_e64 v12, v8, v10, s1
	s_delay_alu instid0(VALU_DEP_2) | instskip(SKIP_1) | instid1(VALU_DEP_2)
	v_cndmask_b32_e64 v11, v7, v9, s1
	v_add_f64 v[7:8], v[7:8], -v[9:10]
	v_cmp_neq_f64_e64 s1, 0x7ff00000, |v[11:12]|
	v_cmp_ngt_f64_e64 s2, 0xc090cc00, v[11:12]
	s_delay_alu instid0(VALU_DEP_3) | instskip(SKIP_1) | instid1(VALU_DEP_2)
	v_add_f64 v[3:4], v[3:4], -v[7:8]
	v_mul_f64 v[7:8], v[11:12], s[70:71]
	v_cndmask_b32_e64 v4, 0, v4, s1
	s_delay_alu instid0(VALU_DEP_2) | instskip(NEXT) | instid1(VALU_DEP_4)
	v_rndne_f64_e32 v[7:8], v[7:8]
	v_cndmask_b32_e64 v3, 0, v3, s1
	v_cmp_lt_f64_e64 s1, 0x40900000, v[11:12]
	s_delay_alu instid0(VALU_DEP_3) | instskip(SKIP_1) | instid1(VALU_DEP_1)
	v_fma_f64 v[9:10], v[7:8], s[72:73], v[11:12]
	s_mov_b32 s72, s37
	v_fma_f64 v[9:10], v[7:8], s[76:77], v[9:10]
	v_cvt_i32_f64_e32 v7, v[7:8]
	s_mov_b32 s76, s38
	s_delay_alu instid0(VALU_DEP_2) | instskip(NEXT) | instid1(VALU_DEP_1)
	v_fma_f64 v[13:14], v[9:10], s[82:83], s[80:81]
	v_fma_f64 v[13:14], v[9:10], v[13:14], s[84:85]
	s_delay_alu instid0(VALU_DEP_1) | instskip(NEXT) | instid1(VALU_DEP_1)
	v_fma_f64 v[13:14], v[9:10], v[13:14], s[86:87]
	v_fma_f64 v[13:14], v[9:10], v[13:14], s[88:89]
	s_delay_alu instid0(VALU_DEP_1) | instskip(NEXT) | instid1(VALU_DEP_1)
	;; [unrolled: 3-line block ×4, first 2 shown]
	v_fma_f64 v[13:14], v[9:10], v[13:14], s[98:99]
	v_fma_f64 v[13:14], v[9:10], v[13:14], 1.0
	s_delay_alu instid0(VALU_DEP_1) | instskip(NEXT) | instid1(VALU_DEP_1)
	v_fma_f64 v[9:10], v[9:10], v[13:14], 1.0
	v_ldexp_f64 v[7:8], v[9:10], v7
	s_delay_alu instid0(VALU_DEP_1) | instskip(SKIP_1) | instid1(VALU_DEP_1)
	v_cndmask_b32_e64 v9, v8, 0x7ff00000, s1
	v_and_b32_e32 v8, 0x7fffffff, v8
	v_cmp_eq_f64_e64 s3, 0x7ff00000, v[7:8]
	s_delay_alu instid0(VALU_DEP_3) | instskip(SKIP_2) | instid1(VALU_DEP_1)
	v_cndmask_b32_e64 v8, 0, v9, s2
	v_trunc_f64_e32 v[9:10], v[1:2]
	v_cndmask_b32_e64 v7, v7, 0, s1
	v_cndmask_b32_e64 v7, 0, v7, s2
	s_delay_alu instid0(VALU_DEP_1)
	v_fma_f64 v[3:4], v[7:8], v[3:4], v[7:8]
	s_or_b32 s1, s1, s3
	v_cmp_gt_f64_e64 s3, 0, v[1:2]
	s_and_b32 s1, s2, s1
	v_cmp_eq_f64_e64 s2, v[9:10], v[1:2]
	scratch_load_b64 v[1:2], v89, off
	v_add_nc_u32_e32 v89, 56, v89
	v_cndmask_b32_e64 v7, v3, v7, s1
	v_cndmask_b32_e64 v8, v4, v8, s1
	;; [unrolled: 1-line block ×4, first 2 shown]
	s_delay_alu instid0(VALU_DEP_1) | instskip(SKIP_4) | instid1(VALU_DEP_1)
	v_cmp_eq_f64_e64 s0, 0, v[3:4]
	v_cmp_gt_f64_e64 s1, 0, v[3:4]
	s_and_b32 vcc_lo, s2, vcc_lo
	v_cndmask_b32_e64 v9, 0, v7, s2
	v_cndmask_b32_e32 v5, 0x3ff00000, v4, vcc_lo
	v_bfi_b32 v5, 0x7fffffff, v8, v5
	v_cndmask_b32_e32 v8, 0, v4, vcc_lo
	s_xor_b32 s3, s3, s0
	v_cndmask_b32_e64 v7, v7, v9, s1
	v_cndmask_b32_e64 v6, 0x7ff00000, 0, s3
	;; [unrolled: 1-line block ×3, first 2 shown]
	s_or_b32 vcc_lo, s4, s0
	s_delay_alu instid0(VALU_DEP_2) | instskip(NEXT) | instid1(VALU_DEP_2)
	v_bfi_b32 v6, 0x7fffffff, v6, v8
	v_cndmask_b32_e64 v5, v5, v9, s1
	s_delay_alu instid0(VALU_DEP_1) | instskip(SKIP_3) | instid1(VALU_DEP_3)
	v_cndmask_b32_e32 v6, v5, v6, vcc_lo
	v_cndmask_b32_e64 v5, v7, 0, vcc_lo
	v_cmp_o_f64_e32 vcc_lo, v[3:4], v[3:4]
	v_cvt_f64_i32_e32 v[3:4], v0
	v_cndmask_b32_e32 v5, 0, v5, vcc_lo
	v_cndmask_b32_e32 v6, 0x7ff80000, v6, vcc_lo
	v_cmp_eq_u32_e32 vcc_lo, -1, v104
	s_delay_alu instid0(VALU_DEP_2) | instskip(SKIP_2) | instid1(VALU_DEP_1)
	v_mul_f64 v[3:4], v[5:6], v[3:4]
	s_or_b32 s69, vcc_lo, s69
	s_waitcnt vmcnt(0)
	v_fma_f64 v[74:75], v[1:2], v[3:4], v[74:75]
	s_and_not1_b32 exec_lo, exec_lo, s69
	s_cbranch_execnz .LBB0_246
; %bb.247:                              ;   in Loop: Header=BB0_244 Depth=2
	s_or_b32 exec_lo, exec_lo, s69
	s_branch .LBB0_243
.LBB0_248:                              ;   in Loop: Header=BB0_225 Depth=1
	s_or_b32 exec_lo, exec_lo, s104
	v_readlane_b32 s8, v187, 29
	v_readlane_b32 s9, v187, 30
	;; [unrolled: 1-line block ×3, first 2 shown]
.LBB0_249:                              ;   in Loop: Header=BB0_225 Depth=1
	s_or_b32 exec_lo, exec_lo, s39
	scratch_load_b64 v[0:1], off, s33 offset:864 ; 8-byte Folded Reload
	scratch_store_b64 off, v[168:169], s33 offset:432
	s_waitcnt vmcnt(0)
	v_mul_f64 v[0:1], v[0:1], v[184:185]
	s_delay_alu instid0(VALU_DEP_1) | instskip(NEXT) | instid1(VALU_DEP_1)
	v_add_f64 v[0:1], v[0:1], v[0:1]
	v_fma_f64 v[2:3], v[120:121], v[62:63], v[0:1]
	s_mov_b32 s0, exec_lo
	v_readlane_b32 s1, v187, 18
	s_delay_alu instid0(VALU_DEP_1) | instskip(NEXT) | instid1(SALU_CYCLE_1)
	s_and_b32 s1, s0, s1
	s_mov_b32 exec_lo, s1
	s_cbranch_execz .LBB0_251
; %bb.250:                              ;   in Loop: Header=BB0_225 Depth=1
	s_delay_alu instid0(VALU_DEP_2)
	v_mul_f64 v[0:1], v[168:169], v[2:3]
	scratch_store_b64 off, v[0:1], s33 offset:488
.LBB0_251:                              ;   in Loop: Header=BB0_225 Depth=1
	s_or_b32 exec_lo, exec_lo, s0
	s_clause 0x1
	scratch_load_b64 v[0:1], off, s33 offset:872
	scratch_load_b64 v[4:5], off, s33 offset:840
	s_waitcnt vmcnt(1)
	v_mul_f64 v[0:1], v[0:1], v[184:185]
	s_delay_alu instid0(VALU_DEP_1) | instskip(SKIP_1) | instid1(VALU_DEP_1)
	v_add_f64 v[0:1], v[0:1], v[0:1]
	s_waitcnt vmcnt(0)
	v_fma_f64 v[0:1], v[4:5], v[62:63], v[0:1]
	s_mov_b32 s0, exec_lo
	v_readlane_b32 s1, v187, 19
	s_delay_alu instid0(VALU_DEP_1) | instskip(NEXT) | instid1(SALU_CYCLE_1)
	s_and_b32 s1, s0, s1
	s_mov_b32 exec_lo, s1
	s_cbranch_execz .LBB0_253
; %bb.252:                              ;   in Loop: Header=BB0_225 Depth=1
	s_delay_alu instid0(VALU_DEP_2)
	v_mul_f64 v[4:5], v[168:169], v[0:1]
	scratch_store_b64 off, v[4:5], s33 offset:440
.LBB0_253:                              ;   in Loop: Header=BB0_225 Depth=1
	s_or_b32 exec_lo, exec_lo, s0
	s_delay_alu instid0(SALU_CYCLE_1) | instskip(SKIP_1) | instid1(VALU_DEP_1)
	s_mov_b32 s0, exec_lo
	v_readlane_b32 s1, v187, 13
	s_and_b32 s1, s0, s1
	s_delay_alu instid0(SALU_CYCLE_1)
	s_mov_b32 exec_lo, s1
	s_cbranch_execz .LBB0_256
; %bb.254:                              ;   in Loop: Header=BB0_225 Depth=1
	scratch_load_b64 v[4:5], off, s33 offset:488
	v_readlane_b32 s3, v187, 11
	s_mov_b32 s1, 1
	s_mov_b32 s2, 0
	.p2align	6
.LBB0_255:                              ;   Parent Loop BB0_225 Depth=1
                                        ; =>  This Inner Loop Header: Depth=2
	scratch_load_b64 v[6:7], off, s3 offset:-112
	v_cvt_f64_i32_e32 v[8:9], s1
	s_add_i32 s1, s1, 1
	s_delay_alu instid0(SALU_CYCLE_1) | instskip(NEXT) | instid1(VALU_DEP_2)
	v_cmp_eq_u32_e32 vcc_lo, s1, v126
	v_mul_f64 v[8:9], v[58:59], v[8:9]
	s_waitcnt vmcnt(0)
	s_delay_alu instid0(VALU_DEP_1) | instskip(NEXT) | instid1(VALU_DEP_1)
	v_mul_f64 v[6:7], v[6:7], v[8:9]
	v_fma_f64 v[4:5], v[2:3], v[4:5], v[6:7]
	scratch_store_b64 off, v[4:5], s3
	s_add_i32 s3, s3, 56
	s_or_b32 s2, vcc_lo, s2
	s_delay_alu instid0(SALU_CYCLE_1)
	s_and_not1_b32 exec_lo, exec_lo, s2
	s_cbranch_execnz .LBB0_255
.LBB0_256:                              ;   in Loop: Header=BB0_225 Depth=1
	s_or_b32 exec_lo, exec_lo, s0
	s_and_saveexec_b32 s0, s9
	s_cbranch_execz .LBB0_259
; %bb.257:                              ;   in Loop: Header=BB0_225 Depth=1
	scratch_load_b64 v[2:3], off, s33 offset:440
	v_dual_mov_b32 v4, v168 :: v_dual_mov_b32 v5, v169
	v_readlane_b32 s3, v187, 27
	s_mov_b32 s1, 1
	s_mov_b32 s2, 0
	.p2align	6
.LBB0_258:                              ;   Parent Loop BB0_225 Depth=1
                                        ; =>  This Inner Loop Header: Depth=2
	v_cvt_f64_i32_e32 v[6:7], s1
	s_add_i32 s1, s1, 1
	s_delay_alu instid0(SALU_CYCLE_1) | instskip(NEXT) | instid1(VALU_DEP_2)
	v_cmp_eq_u32_e32 vcc_lo, s1, v127
	v_mul_f64 v[6:7], v[90:91], v[6:7]
	s_delay_alu instid0(VALU_DEP_1) | instskip(SKIP_2) | instid1(VALU_DEP_1)
	v_mul_f64 v[4:5], v[4:5], v[6:7]
	s_waitcnt vmcnt(0)
	v_dual_mov_b32 v7, v3 :: v_dual_mov_b32 v6, v2
	v_fma_f64 v[2:3], v[0:1], v[6:7], v[4:5]
	v_dual_mov_b32 v4, v6 :: v_dual_mov_b32 v5, v7
	scratch_store_b64 off, v[2:3], s3
	s_add_i32 s3, s3, 8
	s_or_b32 s2, vcc_lo, s2
	s_delay_alu instid0(SALU_CYCLE_1)
	s_and_not1_b32 exec_lo, exec_lo, s2
	s_cbranch_execnz .LBB0_258
.LBB0_259:                              ;   in Loop: Header=BB0_225 Depth=1
	s_or_b32 exec_lo, exec_lo, s0
	s_delay_alu instid0(SALU_CYCLE_1) | instskip(SKIP_1) | instid1(VALU_DEP_1)
	s_mov_b32 s0, exec_lo
	v_readlane_b32 s1, v187, 20
	s_and_b32 s1, s0, s1
	s_delay_alu instid0(SALU_CYCLE_1)
	s_mov_b32 exec_lo, s1
	s_cbranch_execz .LBB0_265
; %bb.260:                              ;   in Loop: Header=BB0_225 Depth=1
	v_mov_b32_e32 v2, 0
	v_mov_b32_e32 v3, 0x3ff00000
	v_readlane_b32 s2, v187, 28
	s_mov_b32 s3, 1
	s_mov_b32 s1, 0
	s_branch .LBB0_262
.LBB0_261:                              ;   in Loop: Header=BB0_262 Depth=2
	s_or_b32 exec_lo, exec_lo, s4
	v_add_f64 v[2:3], v[2:3], 1.0
	v_cmp_eq_u32_e32 vcc_lo, s3, v126
	s_add_i32 s3, s3, 1
	s_add_i32 s2, s2, 56
	s_or_b32 s1, vcc_lo, s1
	s_delay_alu instid0(SALU_CYCLE_1)
	s_and_not1_b32 exec_lo, exec_lo, s1
	s_cbranch_execz .LBB0_265
.LBB0_262:                              ;   Parent Loop BB0_225 Depth=1
                                        ; =>  This Loop Header: Depth=2
                                        ;       Child Loop BB0_264 Depth 3
	s_mul_i32 s4, s3, 56
	s_add_i32 s5, s33, 0x1b0
	s_delay_alu instid0(VALU_DEP_2)
	v_mul_f64 v[4:5], v[184:185], v[2:3]
	s_add_i32 s4, s4, s5
	s_clause 0x1
	scratch_load_b64 v[8:9], off, s4
	scratch_load_b64 v[6:7], off, s4 offset:-56
	s_waitcnt vmcnt(1)
	v_mul_f64 v[10:11], v[0:1], v[8:9]
	s_waitcnt vmcnt(0)
	s_delay_alu instid0(VALU_DEP_1)
	v_fma_f64 v[6:7], v[6:7], v[4:5], v[10:11]
	scratch_store_b64 off, v[6:7], s4 offset:8
	s_and_saveexec_b32 s4, s9
	s_cbranch_execz .LBB0_261
; %bb.263:                              ;   in Loop: Header=BB0_262 Depth=2
	s_mov_b32 s5, 1
	s_mov_b32 s6, 0
	s_mov_b32 s7, s2
	.p2align	6
.LBB0_264:                              ;   Parent Loop BB0_225 Depth=1
                                        ;     Parent Loop BB0_262 Depth=2
                                        ; =>    This Inner Loop Header: Depth=3
	scratch_load_b64 v[10:11], off, s7 offset:-64
	v_cvt_f64_i32_e32 v[12:13], s5
	s_add_i32 s5, s5, 1
	s_delay_alu instid0(SALU_CYCLE_1) | instskip(NEXT) | instid1(VALU_DEP_2)
	v_cmp_eq_u32_e32 vcc_lo, s5, v127
	v_mul_f64 v[12:13], v[90:91], v[12:13]
	s_delay_alu instid0(VALU_DEP_1) | instskip(SKIP_1) | instid1(VALU_DEP_1)
	v_mul_f64 v[8:9], v[8:9], v[12:13]
	s_waitcnt vmcnt(0)
	v_fma_f64 v[8:9], v[4:5], v[10:11], v[8:9]
	v_dual_mov_b32 v11, v7 :: v_dual_mov_b32 v10, v6
	s_delay_alu instid0(VALU_DEP_1) | instskip(SKIP_4) | instid1(SALU_CYCLE_1)
	v_fma_f64 v[6:7], v[0:1], v[10:11], v[8:9]
	v_dual_mov_b32 v8, v10 :: v_dual_mov_b32 v9, v11
	scratch_store_b64 off, v[6:7], s7
	s_add_i32 s7, s7, 8
	s_or_b32 s6, vcc_lo, s6
	s_and_not1_b32 exec_lo, exec_lo, s6
	s_cbranch_execnz .LBB0_264
	s_branch .LBB0_261
.LBB0_265:                              ;   in Loop: Header=BB0_225 Depth=1
	s_or_b32 exec_lo, exec_lo, s0
	v_mov_b32_e32 v74, 0
	v_mov_b32_e32 v75, 0
	s_mov_b32 s39, exec_lo
	v_readlane_b32 s0, v187, 7
	s_delay_alu instid0(VALU_DEP_1) | instskip(NEXT) | instid1(SALU_CYCLE_1)
	s_and_b32 s0, s39, s0
	s_mov_b32 exec_lo, s0
	s_cbranch_execz .LBB0_273
; %bb.266:                              ;   in Loop: Header=BB0_225 Depth=1
	scratch_load_b32 v104, off, s33 offset:916 ; 4-byte Folded Reload
	v_mov_b32_e32 v88, 0
	v_mov_b32_e32 v89, 0
	s_delay_alu instid0(VALU_DEP_2) | instskip(SKIP_2) | instid1(VALU_DEP_2)
	v_mov_b32_e32 v74, v88
	s_mov_b32 s104, 0
	s_mov_b32 s65, 0
	v_mov_b32_e32 v75, v89
	s_branch .LBB0_268
.LBB0_267:                              ;   in Loop: Header=BB0_268 Depth=2
	s_or_b32 exec_lo, exec_lo, s67
	v_dual_mov_b32 v31, v40 :: v_dual_mov_b32 v0, v45
	v_mov_b32_e32 v1, s65
	s_mov_b64 s[4:5], s[22:23]
	s_mov_b64 s[6:7], s[24:25]
	;; [unrolled: 1-line block ×3, first 2 shown]
	s_mov_b32 s12, s72
	s_mov_b32 s13, s76
	;; [unrolled: 1-line block ×3, first 2 shown]
	s_getpc_b64 s[0:1]
	s_add_u32 s0, s0, _Z13cuda_binomialii@rel32@lo+4
	s_addc_u32 s1, s1, _Z13cuda_binomialii@rel32@hi+12
	s_delay_alu instid0(SALU_CYCLE_1)
	s_swappc_b64 s[30:31], s[0:1]
	v_subrev_nc_u32_e32 v1, s65, v45
	v_readlane_b32 s0, v187, 25
	s_mov_b32 s100, s34
	s_mov_b32 s72, s74
	;; [unrolled: 1-line block ×3, first 2 shown]
	v_cvt_f64_i32_e32 v[1:2], v1
	v_readlane_b32 s10, v187, 2
	v_readlane_b32 s24, v187, 0
	;; [unrolled: 1-line block ×4, first 2 shown]
	s_mov_b64 s[22:23], s[40:41]
	s_mov_b64 s[26:27], s[44:45]
	s_mov_b32 s14, s36
	v_add_nc_u32_e32 v104, 8, v104
	v_cndmask_b32_e64 v2, v2, 0x3ff00000, s0
	v_cndmask_b32_e64 v1, v1, 0, s0
	s_delay_alu instid0(VALU_DEP_1) | instskip(SKIP_3) | instid1(VALU_DEP_2)
	v_cmp_eq_f64_e32 vcc_lo, 0, v[1:2]
	v_cndmask_b32_e64 v6, v152, 0x3ff00000, vcc_lo
	v_cndmask_b32_e64 v5, v153, 0, vcc_lo
	;; [unrolled: 1-line block ×3, first 2 shown]
	v_frexp_mant_f64_e32 v[7:8], v[5:6]
	v_frexp_exp_i32_f64_e32 v3, v[5:6]
	s_delay_alu instid0(VALU_DEP_2) | instskip(NEXT) | instid1(VALU_DEP_1)
	v_cmp_gt_f64_e64 s0, s[34:35], v[7:8]
	v_cndmask_b32_e64 v173, 0x3ff00000, 2.0, s0
	s_delay_alu instid0(VALU_DEP_3) | instskip(NEXT) | instid1(VALU_DEP_2)
	v_subrev_co_ci_u32_e64 v3, s0, 0, v3, s0
	v_mul_f64 v[7:8], v[7:8], v[172:173]
	s_delay_alu instid0(VALU_DEP_1) | instskip(SKIP_1) | instid1(VALU_DEP_2)
	v_add_f64 v[9:10], v[7:8], 1.0
	v_add_f64 v[15:16], v[7:8], -1.0
	v_rcp_f64_e32 v[11:12], v[9:10]
	v_add_f64 v[17:18], v[9:10], -1.0
	s_delay_alu instid0(VALU_DEP_1) | instskip(SKIP_2) | instid1(VALU_DEP_1)
	v_add_f64 v[7:8], v[7:8], -v[17:18]
	s_waitcnt_depctr 0xfff
	v_fma_f64 v[13:14], -v[9:10], v[11:12], 1.0
	v_fma_f64 v[11:12], v[13:14], v[11:12], v[11:12]
	s_delay_alu instid0(VALU_DEP_1) | instskip(NEXT) | instid1(VALU_DEP_1)
	v_fma_f64 v[13:14], -v[9:10], v[11:12], 1.0
	v_fma_f64 v[11:12], v[13:14], v[11:12], v[11:12]
	s_delay_alu instid0(VALU_DEP_1) | instskip(NEXT) | instid1(VALU_DEP_1)
	v_mul_f64 v[13:14], v[15:16], v[11:12]
	v_mul_f64 v[19:20], v[9:10], v[13:14]
	s_delay_alu instid0(VALU_DEP_1) | instskip(NEXT) | instid1(VALU_DEP_1)
	v_fma_f64 v[9:10], v[13:14], v[9:10], -v[19:20]
	v_fma_f64 v[7:8], v[13:14], v[7:8], v[9:10]
	s_delay_alu instid0(VALU_DEP_1) | instskip(NEXT) | instid1(VALU_DEP_1)
	v_add_f64 v[9:10], v[19:20], v[7:8]
	v_add_f64 v[17:18], v[15:16], -v[9:10]
	v_add_f64 v[19:20], v[9:10], -v[19:20]
	s_delay_alu instid0(VALU_DEP_2) | instskip(NEXT) | instid1(VALU_DEP_2)
	v_add_f64 v[15:16], v[15:16], -v[17:18]
	v_add_f64 v[7:8], v[19:20], -v[7:8]
	s_delay_alu instid0(VALU_DEP_2) | instskip(NEXT) | instid1(VALU_DEP_1)
	v_add_f64 v[9:10], v[15:16], -v[9:10]
	v_add_f64 v[7:8], v[7:8], v[9:10]
	s_delay_alu instid0(VALU_DEP_1) | instskip(NEXT) | instid1(VALU_DEP_1)
	v_add_f64 v[7:8], v[17:18], v[7:8]
	v_mul_f64 v[7:8], v[11:12], v[7:8]
	s_delay_alu instid0(VALU_DEP_1) | instskip(NEXT) | instid1(VALU_DEP_1)
	v_add_f64 v[9:10], v[13:14], v[7:8]
	v_add_f64 v[11:12], v[9:10], -v[13:14]
	v_mul_f64 v[13:14], v[9:10], v[9:10]
	s_delay_alu instid0(VALU_DEP_2) | instskip(NEXT) | instid1(VALU_DEP_2)
	v_add_f64 v[7:8], v[7:8], -v[11:12]
	v_fma_f64 v[11:12], v[9:10], v[9:10], -v[13:14]
	s_delay_alu instid0(VALU_DEP_2) | instskip(NEXT) | instid1(VALU_DEP_1)
	v_add_f64 v[15:16], v[7:8], v[7:8]
	v_fma_f64 v[11:12], v[9:10], v[15:16], v[11:12]
	s_delay_alu instid0(VALU_DEP_1) | instskip(NEXT) | instid1(VALU_DEP_1)
	v_add_f64 v[15:16], v[13:14], v[11:12]
	v_fma_f64 v[17:18], v[15:16], s[52:53], s[102:103]
	v_add_f64 v[13:14], v[15:16], -v[13:14]
	v_mul_f64 v[23:24], v[9:10], v[15:16]
	s_delay_alu instid0(VALU_DEP_3) | instskip(NEXT) | instid1(VALU_DEP_3)
	v_fma_f64 v[17:18], v[15:16], v[17:18], s[56:57]
	v_add_f64 v[11:12], v[11:12], -v[13:14]
	s_delay_alu instid0(VALU_DEP_2) | instskip(NEXT) | instid1(VALU_DEP_1)
	v_fma_f64 v[17:18], v[15:16], v[17:18], s[60:61]
	v_fma_f64 v[17:18], v[15:16], v[17:18], s[46:47]
	s_delay_alu instid0(VALU_DEP_1) | instskip(NEXT) | instid1(VALU_DEP_1)
	v_fma_f64 v[17:18], v[15:16], v[17:18], s[48:49]
	v_fma_f64 v[17:18], v[15:16], v[17:18], s[50:51]
	s_delay_alu instid0(VALU_DEP_1) | instskip(NEXT) | instid1(VALU_DEP_1)
	;; [unrolled: 3-line block ×3, first 2 shown]
	v_mul_f64 v[19:20], v[15:16], v[17:18]
	v_fma_f64 v[13:14], v[15:16], v[17:18], -v[19:20]
	s_delay_alu instid0(VALU_DEP_1) | instskip(NEXT) | instid1(VALU_DEP_1)
	v_fma_f64 v[13:14], v[11:12], v[17:18], v[13:14]
	v_add_f64 v[17:18], v[19:20], v[13:14]
	s_delay_alu instid0(VALU_DEP_1) | instskip(SKIP_1) | instid1(VALU_DEP_2)
	v_add_f64 v[21:22], v[17:18], s[34:35]
	v_add_f64 v[19:20], v[17:18], -v[19:20]
	v_add_f64 v[25:26], v[21:22], s[100:101]
	s_delay_alu instid0(VALU_DEP_2) | instskip(SKIP_1) | instid1(VALU_DEP_3)
	v_add_f64 v[13:14], v[13:14], -v[19:20]
	v_fma_f64 v[19:20], v[15:16], v[9:10], -v[23:24]
	v_add_f64 v[17:18], v[17:18], -v[25:26]
	s_delay_alu instid0(VALU_DEP_3) | instskip(NEXT) | instid1(VALU_DEP_3)
	v_add_f64 v[13:14], v[13:14], s[62:63]
	v_fma_f64 v[15:16], v[15:16], v[7:8], v[19:20]
	v_ldexp_f64 v[7:8], v[7:8], 1
	s_delay_alu instid0(VALU_DEP_3) | instskip(NEXT) | instid1(VALU_DEP_3)
	v_add_f64 v[13:14], v[13:14], v[17:18]
	v_fma_f64 v[11:12], v[11:12], v[9:10], v[15:16]
	v_ldexp_f64 v[9:10], v[9:10], 1
	s_delay_alu instid0(VALU_DEP_3) | instskip(NEXT) | instid1(VALU_DEP_3)
	v_add_f64 v[15:16], v[21:22], v[13:14]
	v_add_f64 v[17:18], v[23:24], v[11:12]
	s_delay_alu instid0(VALU_DEP_2) | instskip(NEXT) | instid1(VALU_DEP_2)
	v_add_f64 v[19:20], v[21:22], -v[15:16]
	v_mul_f64 v[21:22], v[17:18], v[15:16]
	v_add_f64 v[23:24], v[17:18], -v[23:24]
	s_delay_alu instid0(VALU_DEP_3) | instskip(NEXT) | instid1(VALU_DEP_3)
	v_add_f64 v[13:14], v[13:14], v[19:20]
	v_fma_f64 v[19:20], v[17:18], v[15:16], -v[21:22]
	s_delay_alu instid0(VALU_DEP_3) | instskip(NEXT) | instid1(VALU_DEP_2)
	v_add_f64 v[11:12], v[11:12], -v[23:24]
	v_fma_f64 v[13:14], v[17:18], v[13:14], v[19:20]
	s_delay_alu instid0(VALU_DEP_1) | instskip(SKIP_1) | instid1(VALU_DEP_2)
	v_fma_f64 v[11:12], v[11:12], v[15:16], v[13:14]
	v_cvt_f64_i32_e32 v[15:16], v3
	v_add_f64 v[13:14], v[21:22], v[11:12]
	s_delay_alu instid0(VALU_DEP_1) | instskip(SKIP_1) | instid1(VALU_DEP_4)
	v_add_f64 v[17:18], v[9:10], v[13:14]
	v_add_f64 v[19:20], v[13:14], -v[21:22]
	v_mul_f64 v[21:22], v[15:16], s[74:75]
	s_delay_alu instid0(VALU_DEP_3) | instskip(NEXT) | instid1(VALU_DEP_3)
	v_add_f64 v[9:10], v[17:18], -v[9:10]
	v_add_f64 v[11:12], v[11:12], -v[19:20]
	s_delay_alu instid0(VALU_DEP_3) | instskip(NEXT) | instid1(VALU_DEP_3)
	v_fma_f64 v[19:20], v[15:16], s[74:75], -v[21:22]
	v_add_f64 v[9:10], v[13:14], -v[9:10]
	s_delay_alu instid0(VALU_DEP_3) | instskip(NEXT) | instid1(VALU_DEP_3)
	v_add_f64 v[7:8], v[7:8], v[11:12]
	v_fma_f64 v[11:12], v[15:16], s[78:79], v[19:20]
	s_delay_alu instid0(VALU_DEP_2) | instskip(NEXT) | instid1(VALU_DEP_2)
	v_add_f64 v[7:8], v[7:8], v[9:10]
	v_add_f64 v[9:10], v[21:22], v[11:12]
	s_delay_alu instid0(VALU_DEP_2) | instskip(NEXT) | instid1(VALU_DEP_2)
	v_add_f64 v[13:14], v[17:18], v[7:8]
	v_add_f64 v[21:22], v[9:10], -v[21:22]
	s_delay_alu instid0(VALU_DEP_2) | instskip(SKIP_1) | instid1(VALU_DEP_3)
	v_add_f64 v[15:16], v[9:10], v[13:14]
	v_add_f64 v[17:18], v[13:14], -v[17:18]
	v_add_f64 v[11:12], v[11:12], -v[21:22]
	s_delay_alu instid0(VALU_DEP_3) | instskip(NEXT) | instid1(VALU_DEP_3)
	v_add_f64 v[19:20], v[15:16], -v[9:10]
	v_add_f64 v[7:8], v[7:8], -v[17:18]
	s_delay_alu instid0(VALU_DEP_2) | instskip(SKIP_1) | instid1(VALU_DEP_3)
	v_add_f64 v[23:24], v[15:16], -v[19:20]
	v_add_f64 v[13:14], v[13:14], -v[19:20]
	v_add_f64 v[17:18], v[11:12], v[7:8]
	s_delay_alu instid0(VALU_DEP_3) | instskip(NEXT) | instid1(VALU_DEP_1)
	v_add_f64 v[9:10], v[9:10], -v[23:24]
	v_add_f64 v[9:10], v[13:14], v[9:10]
	s_delay_alu instid0(VALU_DEP_3) | instskip(NEXT) | instid1(VALU_DEP_2)
	v_add_f64 v[13:14], v[17:18], -v[11:12]
	v_add_f64 v[9:10], v[17:18], v[9:10]
	s_delay_alu instid0(VALU_DEP_2) | instskip(SKIP_1) | instid1(VALU_DEP_3)
	v_add_f64 v[17:18], v[17:18], -v[13:14]
	v_add_f64 v[7:8], v[7:8], -v[13:14]
	v_add_f64 v[19:20], v[15:16], v[9:10]
	s_delay_alu instid0(VALU_DEP_3) | instskip(NEXT) | instid1(VALU_DEP_2)
	v_add_f64 v[11:12], v[11:12], -v[17:18]
	v_add_f64 v[13:14], v[19:20], -v[15:16]
	s_delay_alu instid0(VALU_DEP_2) | instskip(NEXT) | instid1(VALU_DEP_2)
	v_add_f64 v[7:8], v[7:8], v[11:12]
	v_add_f64 v[9:10], v[9:10], -v[13:14]
	s_delay_alu instid0(VALU_DEP_1) | instskip(NEXT) | instid1(VALU_DEP_1)
	v_add_f64 v[7:8], v[7:8], v[9:10]
	v_add_f64 v[9:10], v[19:20], v[7:8]
	s_delay_alu instid0(VALU_DEP_1) | instskip(SKIP_1) | instid1(VALU_DEP_2)
	v_add_f64 v[11:12], v[9:10], -v[19:20]
	v_mul_f64 v[13:14], v[1:2], v[9:10]
	v_add_f64 v[7:8], v[7:8], -v[11:12]
	s_delay_alu instid0(VALU_DEP_2) | instskip(SKIP_1) | instid1(VALU_DEP_2)
	v_fma_f64 v[9:10], v[1:2], v[9:10], -v[13:14]
	v_cmp_class_f64_e64 s0, v[13:14], 0x204
	v_fma_f64 v[7:8], v[1:2], v[7:8], v[9:10]
	s_delay_alu instid0(VALU_DEP_1) | instskip(NEXT) | instid1(VALU_DEP_1)
	v_add_f64 v[9:10], v[13:14], v[7:8]
	v_cndmask_b32_e64 v12, v10, v14, s0
	s_delay_alu instid0(VALU_DEP_2) | instskip(SKIP_1) | instid1(VALU_DEP_2)
	v_cndmask_b32_e64 v11, v9, v13, s0
	v_add_f64 v[9:10], v[9:10], -v[13:14]
	v_mul_f64 v[15:16], v[11:12], s[70:71]
	v_cmp_lt_f64_e64 s0, 0x40900000, v[11:12]
	v_cmp_neq_f64_e64 s1, 0x7ff00000, |v[11:12]|
	v_cmp_ngt_f64_e64 s2, 0xc090cc00, v[11:12]
	v_add_f64 v[7:8], v[7:8], -v[9:10]
	v_rndne_f64_e32 v[15:16], v[15:16]
	s_delay_alu instid0(VALU_DEP_2) | instskip(NEXT) | instid1(VALU_DEP_3)
	v_cndmask_b32_e64 v8, 0, v8, s1
	v_cndmask_b32_e64 v7, 0, v7, s1
	s_delay_alu instid0(VALU_DEP_3) | instskip(SKIP_2) | instid1(VALU_DEP_2)
	v_fma_f64 v[17:18], v[15:16], s[72:73], v[11:12]
	v_cvt_i32_f64_e32 v3, v[15:16]
	s_mov_b32 s72, s37
	v_fma_f64 v[17:18], v[15:16], s[76:77], v[17:18]
	s_mov_b32 s76, s38
	s_delay_alu instid0(VALU_DEP_1) | instskip(NEXT) | instid1(VALU_DEP_1)
	v_fma_f64 v[19:20], v[17:18], s[82:83], s[80:81]
	v_fma_f64 v[19:20], v[17:18], v[19:20], s[84:85]
	s_delay_alu instid0(VALU_DEP_1) | instskip(NEXT) | instid1(VALU_DEP_1)
	v_fma_f64 v[19:20], v[17:18], v[19:20], s[86:87]
	v_fma_f64 v[19:20], v[17:18], v[19:20], s[88:89]
	;; [unrolled: 3-line block ×4, first 2 shown]
	s_delay_alu instid0(VALU_DEP_1) | instskip(NEXT) | instid1(VALU_DEP_1)
	v_fma_f64 v[19:20], v[17:18], v[19:20], s[98:99]
	v_fma_f64 v[19:20], v[17:18], v[19:20], 1.0
	s_delay_alu instid0(VALU_DEP_1) | instskip(SKIP_1) | instid1(VALU_DEP_2)
	v_fma_f64 v[15:16], v[17:18], v[19:20], 1.0
	v_trunc_f64_e32 v[17:18], v[1:2]
	v_ldexp_f64 v[13:14], v[15:16], v3
	v_mul_f64 v[15:16], v[1:2], 0.5
	s_delay_alu instid0(VALU_DEP_3) | instskip(NEXT) | instid1(VALU_DEP_3)
	v_cmp_eq_f64_e64 s3, v[17:18], v[1:2]
	v_cndmask_b32_e64 v3, v13, 0, s0
	s_delay_alu instid0(VALU_DEP_3) | instskip(SKIP_2) | instid1(VALU_DEP_4)
	v_trunc_f64_e32 v[9:10], v[15:16]
	v_cndmask_b32_e64 v19, v14, 0x7ff00000, s0
	v_and_b32_e32 v14, 0x7fffffff, v14
	v_cndmask_b32_e64 v11, 0, v3, s2
	v_cndmask_b32_e64 v3, v60, 0, vcc_lo
	s_delay_alu instid0(VALU_DEP_4) | instskip(NEXT) | instid1(VALU_DEP_4)
	v_cndmask_b32_e64 v12, 0, v19, s2
	v_cmp_eq_f64_e64 s1, 0x7ff00000, v[13:14]
	s_delay_alu instid0(VALU_DEP_2) | instskip(SKIP_1) | instid1(VALU_DEP_3)
	v_fma_f64 v[7:8], v[11:12], v[7:8], v[11:12]
	v_cmp_neq_f64_e64 s4, v[9:10], v[15:16]
	s_or_b32 s0, s0, s1
	v_cmp_eq_f64_e64 s1, 0, v[3:4]
	s_and_b32 s0, s2, s0
	v_cmp_gt_f64_e64 s2, 0, v[3:4]
	s_delay_alu instid0(VALU_DEP_4) | instskip(SKIP_4) | instid1(VALU_DEP_1)
	v_cndmask_b32_e64 v7, v7, v11, s0
	v_cndmask_b32_e64 v8, v8, v12, s0
	v_cmp_gt_f64_e64 s0, 0, v[1:2]
	s_and_b32 vcc_lo, s3, s4
	v_cndmask_b32_e32 v9, 0x3ff00000, v4, vcc_lo
	v_bfi_b32 v1, 0x7fffffff, v8, v9
	v_cndmask_b32_e64 v8, 0, v7, s3
	s_delay_alu instid0(VALU_DEP_2)
	v_cndmask_b32_e64 v2, 0x7ff80000, v1, s3
	v_cmp_eq_f64_e64 s3, 0x7ff00000, v[5:6]
	s_xor_b32 s0, s0, s1
	v_cndmask_b32_e32 v6, 0, v4, vcc_lo
	v_cndmask_b32_e64 v5, 0x7ff00000, 0, s0
	v_cndmask_b32_e64 v1, v1, v2, s2
	s_delay_alu instid0(VALU_DEP_2) | instskip(SKIP_2) | instid1(VALU_DEP_2)
	v_bfi_b32 v5, 0x7fffffff, v5, v6
	v_cndmask_b32_e64 v6, v7, v8, s2
	s_or_b32 vcc_lo, s3, s1
	v_cndmask_b32_e32 v5, v1, v5, vcc_lo
	s_delay_alu instid0(VALU_DEP_2) | instskip(SKIP_2) | instid1(VALU_DEP_3)
	v_cndmask_b32_e64 v2, v6, 0, vcc_lo
	v_cmp_o_f64_e32 vcc_lo, v[3:4], v[3:4]
	v_cvt_f64_i32_e32 v[0:1], v0
	v_cndmask_b32_e32 v2, 0, v2, vcc_lo
	v_cndmask_b32_e32 v3, 0x7ff80000, v5, vcc_lo
	v_cmp_eq_u32_e32 vcc_lo, s65, v45
	s_add_i32 s65, s65, 1
	s_delay_alu instid0(VALU_DEP_2) | instskip(SKIP_1) | instid1(VALU_DEP_1)
	v_mul_f64 v[0:1], v[2:3], v[0:1]
	s_or_b32 s104, vcc_lo, s104
	v_fma_f64 v[74:75], v[78:79], v[0:1], v[74:75]
	s_and_not1_b32 exec_lo, exec_lo, s104
	s_cbranch_execz .LBB0_272
.LBB0_268:                              ;   Parent Loop BB0_225 Depth=1
                                        ; =>  This Loop Header: Depth=2
                                        ;       Child Loop BB0_270 Depth 3
	v_dual_mov_b32 v78, v88 :: v_dual_mov_b32 v79, v89
	s_mov_b32 s67, exec_lo
	v_readlane_b32 s0, v187, 8
	s_delay_alu instid0(VALU_DEP_1) | instskip(NEXT) | instid1(SALU_CYCLE_1)
	s_and_b32 s0, s67, s0
	s_mov_b32 exec_lo, s0
	s_cbranch_execz .LBB0_267
; %bb.269:                              ;   in Loop: Header=BB0_268 Depth=2
	s_waitcnt vmcnt(0)
	v_dual_mov_b32 v78, 0 :: v_dual_mov_b32 v105, v104
	v_dual_mov_b32 v79, 0 :: v_dual_mov_b32 v42, v106
	s_mov_b32 s69, 0
	s_mov_b32 s42, 0
.LBB0_270:                              ;   Parent Loop BB0_225 Depth=1
                                        ;     Parent Loop BB0_268 Depth=2
                                        ; =>    This Inner Loop Header: Depth=3
	v_dual_mov_b32 v31, v40 :: v_dual_mov_b32 v0, v106
	v_mov_b32_e32 v1, s42
	s_mov_b64 s[4:5], s[22:23]
	s_mov_b64 s[6:7], s[24:25]
	;; [unrolled: 1-line block ×3, first 2 shown]
	s_mov_b32 s12, s72
	s_mov_b32 s13, s76
	;; [unrolled: 1-line block ×3, first 2 shown]
	s_getpc_b64 s[0:1]
	s_add_u32 s0, s0, _Z13cuda_binomialii@rel32@lo+4
	s_addc_u32 s1, s1, _Z13cuda_binomialii@rel32@hi+12
	s_delay_alu instid0(SALU_CYCLE_1)
	s_swappc_b64 s[30:31], s[0:1]
	v_cvt_f64_i32_e32 v[1:2], v42
	s_mov_b32 s100, s34
	s_mov_b32 s72, s74
	;; [unrolled: 1-line block ×3, first 2 shown]
	v_readlane_b32 s10, v187, 2
	v_readlane_b32 s24, v187, 0
	;; [unrolled: 1-line block ×4, first 2 shown]
	s_add_i32 s42, s42, 1
	s_mov_b64 s[22:23], s[40:41]
	s_mov_b64 s[26:27], s[44:45]
	s_mov_b32 s14, s36
	v_add_nc_u32_e32 v42, -1, v42
	v_cndmask_b32_e64 v2, v2, 0x3ff00000, s66
	v_cndmask_b32_e64 v1, v1, 0, s66
	s_delay_alu instid0(VALU_DEP_1) | instskip(SKIP_1) | instid1(VALU_DEP_2)
	v_mul_f64 v[3:4], v[1:2], 0.5
	v_cmp_eq_f64_e64 s0, 0, v[1:2]
	v_trunc_f64_e32 v[7:8], v[3:4]
	s_delay_alu instid0(VALU_DEP_2) | instskip(SKIP_1) | instid1(VALU_DEP_1)
	v_cndmask_b32_e64 v6, v142, 0x3ff00000, s0
	v_cndmask_b32_e64 v5, v143, 0, s0
	v_cmp_eq_f64_e64 s4, 0x7ff00000, v[5:6]
	s_delay_alu instid0(VALU_DEP_4) | instskip(SKIP_1) | instid1(VALU_DEP_1)
	v_cmp_neq_f64_e32 vcc_lo, v[7:8], v[3:4]
	v_frexp_mant_f64_e32 v[3:4], v[5:6]
	v_cmp_gt_f64_e64 s1, s[34:35], v[3:4]
	s_delay_alu instid0(VALU_DEP_1) | instskip(NEXT) | instid1(VALU_DEP_1)
	v_cndmask_b32_e64 v173, 0x3ff00000, 2.0, s1
	v_mul_f64 v[3:4], v[3:4], v[172:173]
	s_delay_alu instid0(VALU_DEP_1) | instskip(NEXT) | instid1(VALU_DEP_1)
	v_add_f64 v[7:8], v[3:4], 1.0
	v_rcp_f64_e32 v[9:10], v[7:8]
	s_waitcnt_depctr 0xfff
	v_fma_f64 v[11:12], -v[7:8], v[9:10], 1.0
	s_delay_alu instid0(VALU_DEP_1) | instskip(NEXT) | instid1(VALU_DEP_1)
	v_fma_f64 v[9:10], v[11:12], v[9:10], v[9:10]
	v_fma_f64 v[11:12], -v[7:8], v[9:10], 1.0
	s_delay_alu instid0(VALU_DEP_1) | instskip(SKIP_1) | instid1(VALU_DEP_1)
	v_fma_f64 v[9:10], v[11:12], v[9:10], v[9:10]
	v_add_f64 v[11:12], v[7:8], -1.0
	v_add_f64 v[11:12], v[3:4], -v[11:12]
	v_add_f64 v[3:4], v[3:4], -1.0
	s_delay_alu instid0(VALU_DEP_1) | instskip(NEXT) | instid1(VALU_DEP_1)
	v_mul_f64 v[13:14], v[3:4], v[9:10]
	v_mul_f64 v[15:16], v[7:8], v[13:14]
	s_delay_alu instid0(VALU_DEP_1) | instskip(NEXT) | instid1(VALU_DEP_1)
	v_fma_f64 v[7:8], v[13:14], v[7:8], -v[15:16]
	v_fma_f64 v[7:8], v[13:14], v[11:12], v[7:8]
	s_delay_alu instid0(VALU_DEP_1) | instskip(NEXT) | instid1(VALU_DEP_1)
	v_add_f64 v[11:12], v[15:16], v[7:8]
	v_add_f64 v[15:16], v[11:12], -v[15:16]
	s_delay_alu instid0(VALU_DEP_1) | instskip(SKIP_1) | instid1(VALU_DEP_1)
	v_add_f64 v[7:8], v[15:16], -v[7:8]
	v_add_f64 v[15:16], v[3:4], -v[11:12]
	;; [unrolled: 1-line block ×3, first 2 shown]
	s_delay_alu instid0(VALU_DEP_1) | instskip(NEXT) | instid1(VALU_DEP_1)
	v_add_f64 v[3:4], v[3:4], -v[11:12]
	v_add_f64 v[3:4], v[7:8], v[3:4]
	s_delay_alu instid0(VALU_DEP_1) | instskip(NEXT) | instid1(VALU_DEP_1)
	v_add_f64 v[3:4], v[15:16], v[3:4]
	v_mul_f64 v[3:4], v[9:10], v[3:4]
	s_delay_alu instid0(VALU_DEP_1) | instskip(NEXT) | instid1(VALU_DEP_1)
	v_add_f64 v[7:8], v[13:14], v[3:4]
	v_add_f64 v[9:10], v[7:8], -v[13:14]
	s_delay_alu instid0(VALU_DEP_1) | instskip(SKIP_1) | instid1(VALU_DEP_2)
	v_add_f64 v[3:4], v[3:4], -v[9:10]
	v_mul_f64 v[9:10], v[7:8], v[7:8]
	v_add_f64 v[13:14], v[3:4], v[3:4]
	s_delay_alu instid0(VALU_DEP_2) | instskip(NEXT) | instid1(VALU_DEP_1)
	v_fma_f64 v[11:12], v[7:8], v[7:8], -v[9:10]
	v_fma_f64 v[11:12], v[7:8], v[13:14], v[11:12]
	s_delay_alu instid0(VALU_DEP_1) | instskip(NEXT) | instid1(VALU_DEP_1)
	v_add_f64 v[13:14], v[9:10], v[11:12]
	v_add_f64 v[9:10], v[13:14], -v[9:10]
	v_mul_f64 v[15:16], v[7:8], v[13:14]
	s_delay_alu instid0(VALU_DEP_2) | instskip(SKIP_1) | instid1(VALU_DEP_3)
	v_add_f64 v[9:10], v[11:12], -v[9:10]
	v_fma_f64 v[11:12], v[13:14], s[52:53], s[102:103]
	v_fma_f64 v[17:18], v[13:14], v[7:8], -v[15:16]
	s_delay_alu instid0(VALU_DEP_2) | instskip(NEXT) | instid1(VALU_DEP_2)
	v_fma_f64 v[11:12], v[13:14], v[11:12], s[56:57]
	v_fma_f64 v[17:18], v[13:14], v[3:4], v[17:18]
	v_ldexp_f64 v[3:4], v[3:4], 1
	s_delay_alu instid0(VALU_DEP_3) | instskip(NEXT) | instid1(VALU_DEP_1)
	v_fma_f64 v[11:12], v[13:14], v[11:12], s[60:61]
	v_fma_f64 v[11:12], v[13:14], v[11:12], s[46:47]
	s_delay_alu instid0(VALU_DEP_1) | instskip(NEXT) | instid1(VALU_DEP_1)
	v_fma_f64 v[11:12], v[13:14], v[11:12], s[48:49]
	v_fma_f64 v[11:12], v[13:14], v[11:12], s[50:51]
	s_delay_alu instid0(VALU_DEP_1) | instskip(NEXT) | instid1(VALU_DEP_1)
	;; [unrolled: 3-line block ×3, first 2 shown]
	v_mul_f64 v[19:20], v[13:14], v[11:12]
	v_fma_f64 v[13:14], v[13:14], v[11:12], -v[19:20]
	s_delay_alu instid0(VALU_DEP_1) | instskip(SKIP_2) | instid1(VALU_DEP_3)
	v_fma_f64 v[11:12], v[9:10], v[11:12], v[13:14]
	v_fma_f64 v[9:10], v[9:10], v[7:8], v[17:18]
	v_ldexp_f64 v[7:8], v[7:8], 1
	v_add_f64 v[13:14], v[19:20], v[11:12]
	s_delay_alu instid0(VALU_DEP_1) | instskip(NEXT) | instid1(VALU_DEP_1)
	v_add_f64 v[17:18], v[13:14], -v[19:20]
	v_add_f64 v[11:12], v[11:12], -v[17:18]
	v_add_f64 v[17:18], v[13:14], s[34:35]
	s_delay_alu instid0(VALU_DEP_2) | instskip(NEXT) | instid1(VALU_DEP_2)
	v_add_f64 v[11:12], v[11:12], s[62:63]
	v_add_f64 v[19:20], v[17:18], s[100:101]
	s_delay_alu instid0(VALU_DEP_1) | instskip(NEXT) | instid1(VALU_DEP_1)
	v_add_f64 v[13:14], v[13:14], -v[19:20]
	v_add_f64 v[11:12], v[11:12], v[13:14]
	s_delay_alu instid0(VALU_DEP_1) | instskip(NEXT) | instid1(VALU_DEP_1)
	v_add_f64 v[13:14], v[17:18], v[11:12]
	v_add_f64 v[17:18], v[17:18], -v[13:14]
	s_delay_alu instid0(VALU_DEP_1) | instskip(SKIP_1) | instid1(VALU_DEP_1)
	v_add_f64 v[11:12], v[11:12], v[17:18]
	v_add_f64 v[17:18], v[15:16], v[9:10]
	v_mul_f64 v[19:20], v[17:18], v[13:14]
	v_add_f64 v[15:16], v[17:18], -v[15:16]
	s_delay_alu instid0(VALU_DEP_2) | instskip(NEXT) | instid1(VALU_DEP_2)
	v_fma_f64 v[21:22], v[17:18], v[13:14], -v[19:20]
	v_add_f64 v[9:10], v[9:10], -v[15:16]
	s_delay_alu instid0(VALU_DEP_2) | instskip(NEXT) | instid1(VALU_DEP_1)
	v_fma_f64 v[11:12], v[17:18], v[11:12], v[21:22]
	v_fma_f64 v[9:10], v[9:10], v[13:14], v[11:12]
	v_frexp_exp_i32_f64_e32 v11, v[5:6]
	s_delay_alu instid0(VALU_DEP_1) | instskip(NEXT) | instid1(VALU_DEP_1)
	v_subrev_co_ci_u32_e64 v11, s1, 0, v11, s1
	v_cvt_f64_i32_e32 v[11:12], v11
	s_delay_alu instid0(VALU_DEP_1) | instskip(NEXT) | instid1(VALU_DEP_1)
	v_mul_f64 v[13:14], v[11:12], s[74:75]
	v_fma_f64 v[15:16], v[11:12], s[74:75], -v[13:14]
	s_delay_alu instid0(VALU_DEP_1) | instskip(NEXT) | instid1(VALU_DEP_1)
	v_fma_f64 v[11:12], v[11:12], s[78:79], v[15:16]
	v_add_f64 v[15:16], v[13:14], v[11:12]
	s_delay_alu instid0(VALU_DEP_1) | instskip(NEXT) | instid1(VALU_DEP_1)
	v_add_f64 v[13:14], v[15:16], -v[13:14]
	v_add_f64 v[11:12], v[11:12], -v[13:14]
	v_add_f64 v[13:14], v[19:20], v[9:10]
	s_delay_alu instid0(VALU_DEP_1) | instskip(NEXT) | instid1(VALU_DEP_1)
	v_add_f64 v[17:18], v[13:14], -v[19:20]
	v_add_f64 v[9:10], v[9:10], -v[17:18]
	v_add_f64 v[17:18], v[7:8], v[13:14]
	s_delay_alu instid0(VALU_DEP_2) | instskip(NEXT) | instid1(VALU_DEP_2)
	v_add_f64 v[3:4], v[3:4], v[9:10]
	v_add_f64 v[7:8], v[17:18], -v[7:8]
	s_delay_alu instid0(VALU_DEP_1) | instskip(NEXT) | instid1(VALU_DEP_1)
	v_add_f64 v[7:8], v[13:14], -v[7:8]
	v_add_f64 v[3:4], v[3:4], v[7:8]
	s_delay_alu instid0(VALU_DEP_1) | instskip(NEXT) | instid1(VALU_DEP_1)
	v_add_f64 v[7:8], v[17:18], v[3:4]
	v_add_f64 v[9:10], v[7:8], -v[17:18]
	s_delay_alu instid0(VALU_DEP_1) | instskip(SKIP_1) | instid1(VALU_DEP_1)
	v_add_f64 v[3:4], v[3:4], -v[9:10]
	v_add_f64 v[9:10], v[15:16], v[7:8]
	v_add_f64 v[13:14], v[9:10], -v[15:16]
	s_delay_alu instid0(VALU_DEP_1) | instskip(SKIP_1) | instid1(VALU_DEP_1)
	v_add_f64 v[7:8], v[7:8], -v[13:14]
	v_add_f64 v[13:14], v[9:10], -v[13:14]
	;; [unrolled: 1-line block ×3, first 2 shown]
	s_delay_alu instid0(VALU_DEP_1) | instskip(SKIP_1) | instid1(VALU_DEP_1)
	v_add_f64 v[7:8], v[7:8], v[13:14]
	v_add_f64 v[13:14], v[11:12], v[3:4]
	v_add_f64 v[15:16], v[13:14], -v[11:12]
	s_delay_alu instid0(VALU_DEP_3) | instskip(NEXT) | instid1(VALU_DEP_2)
	v_add_f64 v[7:8], v[13:14], v[7:8]
	v_add_f64 v[3:4], v[3:4], -v[15:16]
	v_add_f64 v[15:16], v[13:14], -v[15:16]
	s_delay_alu instid0(VALU_DEP_1) | instskip(NEXT) | instid1(VALU_DEP_1)
	v_add_f64 v[11:12], v[11:12], -v[15:16]
	v_add_f64 v[3:4], v[3:4], v[11:12]
	v_add_f64 v[11:12], v[9:10], v[7:8]
	s_delay_alu instid0(VALU_DEP_1) | instskip(NEXT) | instid1(VALU_DEP_1)
	v_add_f64 v[9:10], v[11:12], -v[9:10]
	v_add_f64 v[7:8], v[7:8], -v[9:10]
	s_delay_alu instid0(VALU_DEP_1) | instskip(NEXT) | instid1(VALU_DEP_1)
	v_add_f64 v[3:4], v[3:4], v[7:8]
	v_add_f64 v[7:8], v[11:12], v[3:4]
	s_delay_alu instid0(VALU_DEP_1) | instskip(NEXT) | instid1(VALU_DEP_1)
	v_add_f64 v[9:10], v[7:8], -v[11:12]
	v_add_f64 v[3:4], v[3:4], -v[9:10]
	v_mul_f64 v[9:10], v[1:2], v[7:8]
	s_delay_alu instid0(VALU_DEP_1) | instskip(SKIP_1) | instid1(VALU_DEP_2)
	v_fma_f64 v[7:8], v[1:2], v[7:8], -v[9:10]
	v_cmp_class_f64_e64 s1, v[9:10], 0x204
	v_fma_f64 v[3:4], v[1:2], v[3:4], v[7:8]
	s_delay_alu instid0(VALU_DEP_1) | instskip(NEXT) | instid1(VALU_DEP_1)
	v_add_f64 v[7:8], v[9:10], v[3:4]
	v_cndmask_b32_e64 v12, v8, v10, s1
	s_delay_alu instid0(VALU_DEP_2) | instskip(SKIP_1) | instid1(VALU_DEP_2)
	v_cndmask_b32_e64 v11, v7, v9, s1
	v_add_f64 v[7:8], v[7:8], -v[9:10]
	v_cmp_neq_f64_e64 s1, 0x7ff00000, |v[11:12]|
	v_cmp_ngt_f64_e64 s2, 0xc090cc00, v[11:12]
	s_delay_alu instid0(VALU_DEP_3) | instskip(SKIP_1) | instid1(VALU_DEP_2)
	v_add_f64 v[3:4], v[3:4], -v[7:8]
	v_mul_f64 v[7:8], v[11:12], s[70:71]
	v_cndmask_b32_e64 v4, 0, v4, s1
	s_delay_alu instid0(VALU_DEP_2) | instskip(NEXT) | instid1(VALU_DEP_4)
	v_rndne_f64_e32 v[7:8], v[7:8]
	v_cndmask_b32_e64 v3, 0, v3, s1
	v_cmp_lt_f64_e64 s1, 0x40900000, v[11:12]
	s_delay_alu instid0(VALU_DEP_3) | instskip(SKIP_1) | instid1(VALU_DEP_1)
	v_fma_f64 v[9:10], v[7:8], s[72:73], v[11:12]
	s_mov_b32 s72, s37
	v_fma_f64 v[9:10], v[7:8], s[76:77], v[9:10]
	v_cvt_i32_f64_e32 v7, v[7:8]
	s_mov_b32 s76, s38
	s_delay_alu instid0(VALU_DEP_2) | instskip(NEXT) | instid1(VALU_DEP_1)
	v_fma_f64 v[13:14], v[9:10], s[82:83], s[80:81]
	v_fma_f64 v[13:14], v[9:10], v[13:14], s[84:85]
	s_delay_alu instid0(VALU_DEP_1) | instskip(NEXT) | instid1(VALU_DEP_1)
	v_fma_f64 v[13:14], v[9:10], v[13:14], s[86:87]
	v_fma_f64 v[13:14], v[9:10], v[13:14], s[88:89]
	s_delay_alu instid0(VALU_DEP_1) | instskip(NEXT) | instid1(VALU_DEP_1)
	;; [unrolled: 3-line block ×4, first 2 shown]
	v_fma_f64 v[13:14], v[9:10], v[13:14], s[98:99]
	v_fma_f64 v[13:14], v[9:10], v[13:14], 1.0
	s_delay_alu instid0(VALU_DEP_1) | instskip(NEXT) | instid1(VALU_DEP_1)
	v_fma_f64 v[9:10], v[9:10], v[13:14], 1.0
	v_ldexp_f64 v[7:8], v[9:10], v7
	s_delay_alu instid0(VALU_DEP_1) | instskip(SKIP_1) | instid1(VALU_DEP_1)
	v_cndmask_b32_e64 v9, v8, 0x7ff00000, s1
	v_and_b32_e32 v8, 0x7fffffff, v8
	v_cmp_eq_f64_e64 s3, 0x7ff00000, v[7:8]
	s_delay_alu instid0(VALU_DEP_3) | instskip(SKIP_2) | instid1(VALU_DEP_1)
	v_cndmask_b32_e64 v8, 0, v9, s2
	v_trunc_f64_e32 v[9:10], v[1:2]
	v_cndmask_b32_e64 v7, v7, 0, s1
	v_cndmask_b32_e64 v7, 0, v7, s2
	s_delay_alu instid0(VALU_DEP_1)
	v_fma_f64 v[3:4], v[7:8], v[3:4], v[7:8]
	s_or_b32 s1, s1, s3
	v_cmp_gt_f64_e64 s3, 0, v[1:2]
	s_and_b32 s1, s2, s1
	v_cmp_eq_f64_e64 s2, v[9:10], v[1:2]
	scratch_load_b64 v[1:2], v105, off
	v_add_nc_u32_e32 v105, 56, v105
	v_cndmask_b32_e64 v7, v3, v7, s1
	v_cndmask_b32_e64 v8, v4, v8, s1
	;; [unrolled: 1-line block ×4, first 2 shown]
	s_delay_alu instid0(VALU_DEP_1) | instskip(SKIP_4) | instid1(VALU_DEP_1)
	v_cmp_eq_f64_e64 s0, 0, v[3:4]
	v_cmp_gt_f64_e64 s1, 0, v[3:4]
	s_and_b32 vcc_lo, s2, vcc_lo
	v_cndmask_b32_e64 v9, 0, v7, s2
	v_cndmask_b32_e32 v5, 0x3ff00000, v4, vcc_lo
	v_bfi_b32 v5, 0x7fffffff, v8, v5
	v_cndmask_b32_e32 v8, 0, v4, vcc_lo
	s_xor_b32 s3, s3, s0
	v_cndmask_b32_e64 v7, v7, v9, s1
	v_cndmask_b32_e64 v6, 0x7ff00000, 0, s3
	;; [unrolled: 1-line block ×3, first 2 shown]
	s_or_b32 vcc_lo, s4, s0
	s_delay_alu instid0(VALU_DEP_2) | instskip(NEXT) | instid1(VALU_DEP_2)
	v_bfi_b32 v6, 0x7fffffff, v6, v8
	v_cndmask_b32_e64 v5, v5, v9, s1
	s_delay_alu instid0(VALU_DEP_1) | instskip(SKIP_3) | instid1(VALU_DEP_3)
	v_cndmask_b32_e32 v6, v5, v6, vcc_lo
	v_cndmask_b32_e64 v5, v7, 0, vcc_lo
	v_cmp_o_f64_e32 vcc_lo, v[3:4], v[3:4]
	v_cvt_f64_i32_e32 v[3:4], v0
	v_cndmask_b32_e32 v5, 0, v5, vcc_lo
	v_cndmask_b32_e32 v6, 0x7ff80000, v6, vcc_lo
	v_cmp_eq_u32_e32 vcc_lo, -1, v42
	s_delay_alu instid0(VALU_DEP_2) | instskip(SKIP_2) | instid1(VALU_DEP_1)
	v_mul_f64 v[3:4], v[5:6], v[3:4]
	s_or_b32 s69, vcc_lo, s69
	s_waitcnt vmcnt(0)
	v_fma_f64 v[78:79], v[1:2], v[3:4], v[78:79]
	s_and_not1_b32 exec_lo, exec_lo, s69
	s_cbranch_execnz .LBB0_270
; %bb.271:                              ;   in Loop: Header=BB0_268 Depth=2
	s_or_b32 exec_lo, exec_lo, s69
	s_branch .LBB0_267
.LBB0_272:                              ;   in Loop: Header=BB0_225 Depth=1
	s_or_b32 exec_lo, exec_lo, s104
	v_readlane_b32 s8, v187, 29
	v_readlane_b32 s9, v187, 30
	;; [unrolled: 1-line block ×3, first 2 shown]
.LBB0_273:                              ;   in Loop: Header=BB0_225 Depth=1
	s_or_b32 exec_lo, exec_lo, s39
	scratch_load_b64 v[0:1], off, s33 offset:880 ; 8-byte Folded Reload
	scratch_store_b64 off, v[170:171], s33 offset:432
	s_waitcnt vmcnt(0)
	v_mul_f64 v[0:1], v[0:1], v[184:185]
	s_delay_alu instid0(VALU_DEP_1) | instskip(NEXT) | instid1(VALU_DEP_1)
	v_add_f64 v[0:1], v[0:1], v[0:1]
	v_fma_f64 v[2:3], v[122:123], v[62:63], v[0:1]
	s_mov_b32 s0, exec_lo
	v_readlane_b32 s1, v187, 21
	s_delay_alu instid0(VALU_DEP_1) | instskip(NEXT) | instid1(SALU_CYCLE_1)
	s_and_b32 s1, s0, s1
	s_mov_b32 exec_lo, s1
	s_cbranch_execz .LBB0_275
; %bb.274:                              ;   in Loop: Header=BB0_225 Depth=1
	s_delay_alu instid0(VALU_DEP_2)
	v_mul_f64 v[0:1], v[170:171], v[2:3]
	scratch_store_b64 off, v[0:1], s33 offset:488
.LBB0_275:                              ;   in Loop: Header=BB0_225 Depth=1
	s_or_b32 exec_lo, exec_lo, s0
	scratch_load_b64 v[0:1], off, s33 offset:888 ; 8-byte Folded Reload
	s_waitcnt vmcnt(0)
	v_mul_f64 v[0:1], v[0:1], v[184:185]
	s_delay_alu instid0(VALU_DEP_1) | instskip(NEXT) | instid1(VALU_DEP_1)
	v_add_f64 v[0:1], v[0:1], v[0:1]
	v_fma_f64 v[0:1], v[108:109], v[62:63], v[0:1]
	s_mov_b32 s0, exec_lo
	v_readlane_b32 s1, v187, 22
	s_delay_alu instid0(VALU_DEP_1) | instskip(NEXT) | instid1(SALU_CYCLE_1)
	s_and_b32 s1, s0, s1
	s_mov_b32 exec_lo, s1
	s_cbranch_execz .LBB0_277
; %bb.276:                              ;   in Loop: Header=BB0_225 Depth=1
	s_delay_alu instid0(VALU_DEP_2)
	v_mul_f64 v[4:5], v[170:171], v[0:1]
	scratch_store_b64 off, v[4:5], s33 offset:440
.LBB0_277:                              ;   in Loop: Header=BB0_225 Depth=1
	s_or_b32 exec_lo, exec_lo, s0
	s_delay_alu instid0(SALU_CYCLE_1) | instskip(SKIP_1) | instid1(VALU_DEP_1)
	s_mov_b32 s0, exec_lo
	v_readlane_b32 s1, v187, 14
	s_and_b32 s1, s0, s1
	s_delay_alu instid0(SALU_CYCLE_1)
	s_mov_b32 exec_lo, s1
	s_cbranch_execz .LBB0_280
; %bb.278:                              ;   in Loop: Header=BB0_225 Depth=1
	scratch_load_b64 v[4:5], off, s33 offset:488
	v_readlane_b32 s3, v187, 11
	s_mov_b32 s1, 1
	s_mov_b32 s2, 0
	.p2align	6
.LBB0_279:                              ;   Parent Loop BB0_225 Depth=1
                                        ; =>  This Inner Loop Header: Depth=2
	scratch_load_b64 v[6:7], off, s3 offset:-112
	v_cvt_f64_i32_e32 v[8:9], s1
	s_add_i32 s1, s1, 1
	s_delay_alu instid0(SALU_CYCLE_1) | instskip(NEXT) | instid1(VALU_DEP_2)
	v_cmp_eq_u32_e32 vcc_lo, s1, v136
	v_mul_f64 v[8:9], v[58:59], v[8:9]
	s_waitcnt vmcnt(0)
	s_delay_alu instid0(VALU_DEP_1) | instskip(NEXT) | instid1(VALU_DEP_1)
	v_mul_f64 v[6:7], v[6:7], v[8:9]
	v_fma_f64 v[4:5], v[2:3], v[4:5], v[6:7]
	scratch_store_b64 off, v[4:5], s3
	s_add_i32 s3, s3, 56
	s_or_b32 s2, vcc_lo, s2
	s_delay_alu instid0(SALU_CYCLE_1)
	s_and_not1_b32 exec_lo, exec_lo, s2
	s_cbranch_execnz .LBB0_279
.LBB0_280:                              ;   in Loop: Header=BB0_225 Depth=1
	s_or_b32 exec_lo, exec_lo, s0
	s_and_saveexec_b32 s0, s12
	s_cbranch_execz .LBB0_283
; %bb.281:                              ;   in Loop: Header=BB0_225 Depth=1
	scratch_load_b64 v[2:3], off, s33 offset:440
	v_dual_mov_b32 v4, v170 :: v_dual_mov_b32 v5, v171
	v_readlane_b32 s3, v187, 27
	s_mov_b32 s1, 1
	s_mov_b32 s2, 0
	.p2align	6
.LBB0_282:                              ;   Parent Loop BB0_225 Depth=1
                                        ; =>  This Inner Loop Header: Depth=2
	v_cvt_f64_i32_e32 v[6:7], s1
	s_add_i32 s1, s1, 1
	s_delay_alu instid0(SALU_CYCLE_1) | instskip(NEXT) | instid1(VALU_DEP_2)
	v_cmp_eq_u32_e32 vcc_lo, s1, v137
	v_mul_f64 v[6:7], v[90:91], v[6:7]
	s_delay_alu instid0(VALU_DEP_1) | instskip(SKIP_2) | instid1(VALU_DEP_1)
	v_mul_f64 v[4:5], v[4:5], v[6:7]
	s_waitcnt vmcnt(0)
	v_dual_mov_b32 v7, v3 :: v_dual_mov_b32 v6, v2
	v_fma_f64 v[2:3], v[0:1], v[6:7], v[4:5]
	v_dual_mov_b32 v4, v6 :: v_dual_mov_b32 v5, v7
	scratch_store_b64 off, v[2:3], s3
	s_add_i32 s3, s3, 8
	s_or_b32 s2, vcc_lo, s2
	s_delay_alu instid0(SALU_CYCLE_1)
	s_and_not1_b32 exec_lo, exec_lo, s2
	s_cbranch_execnz .LBB0_282
.LBB0_283:                              ;   in Loop: Header=BB0_225 Depth=1
	s_or_b32 exec_lo, exec_lo, s0
	s_delay_alu instid0(SALU_CYCLE_1) | instskip(SKIP_1) | instid1(VALU_DEP_1)
	s_mov_b32 s0, exec_lo
	v_readlane_b32 s1, v187, 23
	s_and_b32 s1, s0, s1
	s_delay_alu instid0(SALU_CYCLE_1)
	s_mov_b32 exec_lo, s1
	s_cbranch_execz .LBB0_289
; %bb.284:                              ;   in Loop: Header=BB0_225 Depth=1
	v_mov_b32_e32 v2, 0
	v_mov_b32_e32 v3, 0x3ff00000
	v_readlane_b32 s2, v187, 28
	s_mov_b32 s3, 1
	s_mov_b32 s1, 0
	s_branch .LBB0_286
.LBB0_285:                              ;   in Loop: Header=BB0_286 Depth=2
	s_or_b32 exec_lo, exec_lo, s4
	v_add_f64 v[2:3], v[2:3], 1.0
	v_cmp_eq_u32_e32 vcc_lo, s3, v136
	s_add_i32 s3, s3, 1
	s_add_i32 s2, s2, 56
	s_or_b32 s1, vcc_lo, s1
	s_delay_alu instid0(SALU_CYCLE_1)
	s_and_not1_b32 exec_lo, exec_lo, s1
	s_cbranch_execz .LBB0_289
.LBB0_286:                              ;   Parent Loop BB0_225 Depth=1
                                        ; =>  This Loop Header: Depth=2
                                        ;       Child Loop BB0_288 Depth 3
	s_mul_i32 s4, s3, 56
	s_add_i32 s5, s33, 0x1b0
	s_delay_alu instid0(VALU_DEP_2)
	v_mul_f64 v[4:5], v[184:185], v[2:3]
	s_add_i32 s4, s4, s5
	s_clause 0x1
	scratch_load_b64 v[8:9], off, s4
	scratch_load_b64 v[6:7], off, s4 offset:-56
	s_waitcnt vmcnt(1)
	v_mul_f64 v[10:11], v[0:1], v[8:9]
	s_waitcnt vmcnt(0)
	s_delay_alu instid0(VALU_DEP_1)
	v_fma_f64 v[6:7], v[6:7], v[4:5], v[10:11]
	scratch_store_b64 off, v[6:7], s4 offset:8
	s_and_saveexec_b32 s4, s12
	s_cbranch_execz .LBB0_285
; %bb.287:                              ;   in Loop: Header=BB0_286 Depth=2
	s_mov_b32 s5, 1
	s_mov_b32 s6, 0
	;; [unrolled: 1-line block ×3, first 2 shown]
	.p2align	6
.LBB0_288:                              ;   Parent Loop BB0_225 Depth=1
                                        ;     Parent Loop BB0_286 Depth=2
                                        ; =>    This Inner Loop Header: Depth=3
	scratch_load_b64 v[10:11], off, s7 offset:-64
	v_cvt_f64_i32_e32 v[12:13], s5
	s_add_i32 s5, s5, 1
	s_delay_alu instid0(SALU_CYCLE_1) | instskip(NEXT) | instid1(VALU_DEP_2)
	v_cmp_eq_u32_e32 vcc_lo, s5, v137
	v_mul_f64 v[12:13], v[90:91], v[12:13]
	s_delay_alu instid0(VALU_DEP_1) | instskip(SKIP_1) | instid1(VALU_DEP_1)
	v_mul_f64 v[8:9], v[8:9], v[12:13]
	s_waitcnt vmcnt(0)
	v_fma_f64 v[8:9], v[4:5], v[10:11], v[8:9]
	v_dual_mov_b32 v11, v7 :: v_dual_mov_b32 v10, v6
	s_delay_alu instid0(VALU_DEP_1) | instskip(SKIP_4) | instid1(SALU_CYCLE_1)
	v_fma_f64 v[6:7], v[0:1], v[10:11], v[8:9]
	v_dual_mov_b32 v8, v10 :: v_dual_mov_b32 v9, v11
	scratch_store_b64 off, v[6:7], s7
	s_add_i32 s7, s7, 8
	s_or_b32 s6, vcc_lo, s6
	s_and_not1_b32 exec_lo, exec_lo, s6
	s_cbranch_execnz .LBB0_288
	s_branch .LBB0_285
.LBB0_289:                              ;   in Loop: Header=BB0_225 Depth=1
	s_or_b32 exec_lo, exec_lo, s0
	v_mov_b32_e32 v58, 0
	v_mov_b32_e32 v59, 0
	s_mov_b32 s39, exec_lo
	v_readlane_b32 s0, v187, 9
	s_delay_alu instid0(VALU_DEP_1) | instskip(NEXT) | instid1(SALU_CYCLE_1)
	s_and_b32 s0, s39, s0
	s_mov_b32 exec_lo, s0
	s_cbranch_execz .LBB0_224
; %bb.290:                              ;   in Loop: Header=BB0_225 Depth=1
	scratch_load_b32 v88, off, s33 offset:920 ; 4-byte Folded Reload
	v_mov_b32_e32 v62, 0
	v_mov_b32_e32 v63, 0
	s_delay_alu instid0(VALU_DEP_2) | instskip(SKIP_2) | instid1(VALU_DEP_2)
	v_mov_b32_e32 v58, v62
	s_mov_b32 s104, 0
	s_mov_b32 s65, 0
	v_mov_b32_e32 v59, v63
	s_branch .LBB0_292
.LBB0_291:                              ;   in Loop: Header=BB0_292 Depth=2
	s_or_b32 exec_lo, exec_lo, s67
	v_dual_mov_b32 v31, v40 :: v_dual_mov_b32 v0, v46
	v_mov_b32_e32 v1, s65
	s_mov_b64 s[4:5], s[22:23]
	s_mov_b64 s[6:7], s[24:25]
	;; [unrolled: 1-line block ×3, first 2 shown]
	s_mov_b32 s12, s72
	s_mov_b32 s13, s76
	s_mov_b32 s15, s43
	s_getpc_b64 s[0:1]
	s_add_u32 s0, s0, _Z13cuda_binomialii@rel32@lo+4
	s_addc_u32 s1, s1, _Z13cuda_binomialii@rel32@hi+12
	s_delay_alu instid0(SALU_CYCLE_1)
	s_swappc_b64 s[30:31], s[0:1]
	v_subrev_nc_u32_e32 v1, s65, v46
	v_readlane_b32 s0, v187, 26
	s_mov_b32 s100, s34
	s_mov_b32 s72, s74
	;; [unrolled: 1-line block ×3, first 2 shown]
	v_cvt_f64_i32_e32 v[1:2], v1
	v_readlane_b32 s10, v187, 2
	v_readlane_b32 s24, v187, 0
	v_readlane_b32 s11, v187, 3
	v_readlane_b32 s25, v187, 1
	s_mov_b64 s[22:23], s[40:41]
	s_mov_b64 s[26:27], s[44:45]
	s_mov_b32 s14, s36
	v_add_nc_u32_e32 v88, 8, v88
	v_cndmask_b32_e64 v2, v2, 0x3ff00000, s0
	v_cndmask_b32_e64 v1, v1, 0, s0
	s_delay_alu instid0(VALU_DEP_1) | instskip(SKIP_3) | instid1(VALU_DEP_2)
	v_cmp_eq_f64_e32 vcc_lo, 0, v[1:2]
	v_cndmask_b32_e64 v6, v156, 0x3ff00000, vcc_lo
	v_cndmask_b32_e64 v5, v157, 0, vcc_lo
	;; [unrolled: 1-line block ×3, first 2 shown]
	v_frexp_mant_f64_e32 v[7:8], v[5:6]
	v_frexp_exp_i32_f64_e32 v3, v[5:6]
	s_delay_alu instid0(VALU_DEP_2) | instskip(NEXT) | instid1(VALU_DEP_1)
	v_cmp_gt_f64_e64 s0, s[34:35], v[7:8]
	v_cndmask_b32_e64 v173, 0x3ff00000, 2.0, s0
	s_delay_alu instid0(VALU_DEP_3) | instskip(NEXT) | instid1(VALU_DEP_2)
	v_subrev_co_ci_u32_e64 v3, s0, 0, v3, s0
	v_mul_f64 v[7:8], v[7:8], v[172:173]
	s_delay_alu instid0(VALU_DEP_1) | instskip(SKIP_1) | instid1(VALU_DEP_2)
	v_add_f64 v[9:10], v[7:8], 1.0
	v_add_f64 v[15:16], v[7:8], -1.0
	v_rcp_f64_e32 v[11:12], v[9:10]
	v_add_f64 v[17:18], v[9:10], -1.0
	s_delay_alu instid0(VALU_DEP_1) | instskip(SKIP_2) | instid1(VALU_DEP_1)
	v_add_f64 v[7:8], v[7:8], -v[17:18]
	s_waitcnt_depctr 0xfff
	v_fma_f64 v[13:14], -v[9:10], v[11:12], 1.0
	v_fma_f64 v[11:12], v[13:14], v[11:12], v[11:12]
	s_delay_alu instid0(VALU_DEP_1) | instskip(NEXT) | instid1(VALU_DEP_1)
	v_fma_f64 v[13:14], -v[9:10], v[11:12], 1.0
	v_fma_f64 v[11:12], v[13:14], v[11:12], v[11:12]
	s_delay_alu instid0(VALU_DEP_1) | instskip(NEXT) | instid1(VALU_DEP_1)
	v_mul_f64 v[13:14], v[15:16], v[11:12]
	v_mul_f64 v[19:20], v[9:10], v[13:14]
	s_delay_alu instid0(VALU_DEP_1) | instskip(NEXT) | instid1(VALU_DEP_1)
	v_fma_f64 v[9:10], v[13:14], v[9:10], -v[19:20]
	v_fma_f64 v[7:8], v[13:14], v[7:8], v[9:10]
	s_delay_alu instid0(VALU_DEP_1) | instskip(NEXT) | instid1(VALU_DEP_1)
	v_add_f64 v[9:10], v[19:20], v[7:8]
	v_add_f64 v[17:18], v[15:16], -v[9:10]
	v_add_f64 v[19:20], v[9:10], -v[19:20]
	s_delay_alu instid0(VALU_DEP_2) | instskip(NEXT) | instid1(VALU_DEP_2)
	v_add_f64 v[15:16], v[15:16], -v[17:18]
	v_add_f64 v[7:8], v[19:20], -v[7:8]
	s_delay_alu instid0(VALU_DEP_2) | instskip(NEXT) | instid1(VALU_DEP_1)
	v_add_f64 v[9:10], v[15:16], -v[9:10]
	v_add_f64 v[7:8], v[7:8], v[9:10]
	s_delay_alu instid0(VALU_DEP_1) | instskip(NEXT) | instid1(VALU_DEP_1)
	v_add_f64 v[7:8], v[17:18], v[7:8]
	v_mul_f64 v[7:8], v[11:12], v[7:8]
	s_delay_alu instid0(VALU_DEP_1) | instskip(NEXT) | instid1(VALU_DEP_1)
	v_add_f64 v[9:10], v[13:14], v[7:8]
	v_add_f64 v[11:12], v[9:10], -v[13:14]
	v_mul_f64 v[13:14], v[9:10], v[9:10]
	s_delay_alu instid0(VALU_DEP_2) | instskip(NEXT) | instid1(VALU_DEP_2)
	v_add_f64 v[7:8], v[7:8], -v[11:12]
	v_fma_f64 v[11:12], v[9:10], v[9:10], -v[13:14]
	s_delay_alu instid0(VALU_DEP_2) | instskip(NEXT) | instid1(VALU_DEP_1)
	v_add_f64 v[15:16], v[7:8], v[7:8]
	v_fma_f64 v[11:12], v[9:10], v[15:16], v[11:12]
	s_delay_alu instid0(VALU_DEP_1) | instskip(NEXT) | instid1(VALU_DEP_1)
	v_add_f64 v[15:16], v[13:14], v[11:12]
	v_fma_f64 v[17:18], v[15:16], s[52:53], s[102:103]
	v_add_f64 v[13:14], v[15:16], -v[13:14]
	v_mul_f64 v[23:24], v[9:10], v[15:16]
	s_delay_alu instid0(VALU_DEP_3) | instskip(NEXT) | instid1(VALU_DEP_3)
	v_fma_f64 v[17:18], v[15:16], v[17:18], s[56:57]
	v_add_f64 v[11:12], v[11:12], -v[13:14]
	s_delay_alu instid0(VALU_DEP_2) | instskip(NEXT) | instid1(VALU_DEP_1)
	v_fma_f64 v[17:18], v[15:16], v[17:18], s[60:61]
	v_fma_f64 v[17:18], v[15:16], v[17:18], s[46:47]
	s_delay_alu instid0(VALU_DEP_1) | instskip(NEXT) | instid1(VALU_DEP_1)
	v_fma_f64 v[17:18], v[15:16], v[17:18], s[48:49]
	v_fma_f64 v[17:18], v[15:16], v[17:18], s[50:51]
	s_delay_alu instid0(VALU_DEP_1) | instskip(NEXT) | instid1(VALU_DEP_1)
	;; [unrolled: 3-line block ×3, first 2 shown]
	v_mul_f64 v[19:20], v[15:16], v[17:18]
	v_fma_f64 v[13:14], v[15:16], v[17:18], -v[19:20]
	s_delay_alu instid0(VALU_DEP_1) | instskip(NEXT) | instid1(VALU_DEP_1)
	v_fma_f64 v[13:14], v[11:12], v[17:18], v[13:14]
	v_add_f64 v[17:18], v[19:20], v[13:14]
	s_delay_alu instid0(VALU_DEP_1) | instskip(SKIP_1) | instid1(VALU_DEP_2)
	v_add_f64 v[21:22], v[17:18], s[34:35]
	v_add_f64 v[19:20], v[17:18], -v[19:20]
	v_add_f64 v[25:26], v[21:22], s[100:101]
	s_delay_alu instid0(VALU_DEP_2) | instskip(SKIP_1) | instid1(VALU_DEP_3)
	v_add_f64 v[13:14], v[13:14], -v[19:20]
	v_fma_f64 v[19:20], v[15:16], v[9:10], -v[23:24]
	v_add_f64 v[17:18], v[17:18], -v[25:26]
	s_delay_alu instid0(VALU_DEP_3) | instskip(NEXT) | instid1(VALU_DEP_3)
	v_add_f64 v[13:14], v[13:14], s[62:63]
	v_fma_f64 v[15:16], v[15:16], v[7:8], v[19:20]
	v_ldexp_f64 v[7:8], v[7:8], 1
	s_delay_alu instid0(VALU_DEP_3) | instskip(NEXT) | instid1(VALU_DEP_3)
	v_add_f64 v[13:14], v[13:14], v[17:18]
	v_fma_f64 v[11:12], v[11:12], v[9:10], v[15:16]
	v_ldexp_f64 v[9:10], v[9:10], 1
	s_delay_alu instid0(VALU_DEP_3) | instskip(NEXT) | instid1(VALU_DEP_3)
	v_add_f64 v[15:16], v[21:22], v[13:14]
	v_add_f64 v[17:18], v[23:24], v[11:12]
	s_delay_alu instid0(VALU_DEP_2) | instskip(NEXT) | instid1(VALU_DEP_2)
	v_add_f64 v[19:20], v[21:22], -v[15:16]
	v_mul_f64 v[21:22], v[17:18], v[15:16]
	v_add_f64 v[23:24], v[17:18], -v[23:24]
	s_delay_alu instid0(VALU_DEP_3) | instskip(NEXT) | instid1(VALU_DEP_3)
	v_add_f64 v[13:14], v[13:14], v[19:20]
	v_fma_f64 v[19:20], v[17:18], v[15:16], -v[21:22]
	s_delay_alu instid0(VALU_DEP_3) | instskip(NEXT) | instid1(VALU_DEP_2)
	v_add_f64 v[11:12], v[11:12], -v[23:24]
	v_fma_f64 v[13:14], v[17:18], v[13:14], v[19:20]
	s_delay_alu instid0(VALU_DEP_1) | instskip(SKIP_1) | instid1(VALU_DEP_2)
	v_fma_f64 v[11:12], v[11:12], v[15:16], v[13:14]
	v_cvt_f64_i32_e32 v[15:16], v3
	v_add_f64 v[13:14], v[21:22], v[11:12]
	s_delay_alu instid0(VALU_DEP_1) | instskip(SKIP_1) | instid1(VALU_DEP_4)
	v_add_f64 v[17:18], v[9:10], v[13:14]
	v_add_f64 v[19:20], v[13:14], -v[21:22]
	v_mul_f64 v[21:22], v[15:16], s[74:75]
	s_delay_alu instid0(VALU_DEP_3) | instskip(NEXT) | instid1(VALU_DEP_3)
	v_add_f64 v[9:10], v[17:18], -v[9:10]
	v_add_f64 v[11:12], v[11:12], -v[19:20]
	s_delay_alu instid0(VALU_DEP_3) | instskip(NEXT) | instid1(VALU_DEP_3)
	v_fma_f64 v[19:20], v[15:16], s[74:75], -v[21:22]
	v_add_f64 v[9:10], v[13:14], -v[9:10]
	s_delay_alu instid0(VALU_DEP_3) | instskip(NEXT) | instid1(VALU_DEP_3)
	v_add_f64 v[7:8], v[7:8], v[11:12]
	v_fma_f64 v[11:12], v[15:16], s[78:79], v[19:20]
	s_delay_alu instid0(VALU_DEP_2) | instskip(NEXT) | instid1(VALU_DEP_2)
	v_add_f64 v[7:8], v[7:8], v[9:10]
	v_add_f64 v[9:10], v[21:22], v[11:12]
	s_delay_alu instid0(VALU_DEP_2) | instskip(NEXT) | instid1(VALU_DEP_2)
	v_add_f64 v[13:14], v[17:18], v[7:8]
	v_add_f64 v[21:22], v[9:10], -v[21:22]
	s_delay_alu instid0(VALU_DEP_2) | instskip(SKIP_1) | instid1(VALU_DEP_3)
	v_add_f64 v[15:16], v[9:10], v[13:14]
	v_add_f64 v[17:18], v[13:14], -v[17:18]
	v_add_f64 v[11:12], v[11:12], -v[21:22]
	s_delay_alu instid0(VALU_DEP_3) | instskip(NEXT) | instid1(VALU_DEP_3)
	v_add_f64 v[19:20], v[15:16], -v[9:10]
	v_add_f64 v[7:8], v[7:8], -v[17:18]
	s_delay_alu instid0(VALU_DEP_2) | instskip(SKIP_1) | instid1(VALU_DEP_3)
	v_add_f64 v[23:24], v[15:16], -v[19:20]
	v_add_f64 v[13:14], v[13:14], -v[19:20]
	v_add_f64 v[17:18], v[11:12], v[7:8]
	s_delay_alu instid0(VALU_DEP_3) | instskip(NEXT) | instid1(VALU_DEP_1)
	v_add_f64 v[9:10], v[9:10], -v[23:24]
	v_add_f64 v[9:10], v[13:14], v[9:10]
	s_delay_alu instid0(VALU_DEP_3) | instskip(NEXT) | instid1(VALU_DEP_2)
	v_add_f64 v[13:14], v[17:18], -v[11:12]
	v_add_f64 v[9:10], v[17:18], v[9:10]
	s_delay_alu instid0(VALU_DEP_2) | instskip(SKIP_1) | instid1(VALU_DEP_3)
	v_add_f64 v[17:18], v[17:18], -v[13:14]
	v_add_f64 v[7:8], v[7:8], -v[13:14]
	v_add_f64 v[19:20], v[15:16], v[9:10]
	s_delay_alu instid0(VALU_DEP_3) | instskip(NEXT) | instid1(VALU_DEP_2)
	v_add_f64 v[11:12], v[11:12], -v[17:18]
	v_add_f64 v[13:14], v[19:20], -v[15:16]
	s_delay_alu instid0(VALU_DEP_2) | instskip(NEXT) | instid1(VALU_DEP_2)
	v_add_f64 v[7:8], v[7:8], v[11:12]
	v_add_f64 v[9:10], v[9:10], -v[13:14]
	s_delay_alu instid0(VALU_DEP_1) | instskip(NEXT) | instid1(VALU_DEP_1)
	v_add_f64 v[7:8], v[7:8], v[9:10]
	v_add_f64 v[9:10], v[19:20], v[7:8]
	s_delay_alu instid0(VALU_DEP_1) | instskip(SKIP_1) | instid1(VALU_DEP_2)
	v_add_f64 v[11:12], v[9:10], -v[19:20]
	v_mul_f64 v[13:14], v[1:2], v[9:10]
	v_add_f64 v[7:8], v[7:8], -v[11:12]
	s_delay_alu instid0(VALU_DEP_2) | instskip(SKIP_1) | instid1(VALU_DEP_2)
	v_fma_f64 v[9:10], v[1:2], v[9:10], -v[13:14]
	v_cmp_class_f64_e64 s0, v[13:14], 0x204
	v_fma_f64 v[7:8], v[1:2], v[7:8], v[9:10]
	s_delay_alu instid0(VALU_DEP_1) | instskip(NEXT) | instid1(VALU_DEP_1)
	v_add_f64 v[9:10], v[13:14], v[7:8]
	v_cndmask_b32_e64 v12, v10, v14, s0
	s_delay_alu instid0(VALU_DEP_2) | instskip(SKIP_1) | instid1(VALU_DEP_2)
	v_cndmask_b32_e64 v11, v9, v13, s0
	v_add_f64 v[9:10], v[9:10], -v[13:14]
	v_mul_f64 v[15:16], v[11:12], s[70:71]
	v_cmp_lt_f64_e64 s0, 0x40900000, v[11:12]
	v_cmp_neq_f64_e64 s1, 0x7ff00000, |v[11:12]|
	v_cmp_ngt_f64_e64 s2, 0xc090cc00, v[11:12]
	v_add_f64 v[7:8], v[7:8], -v[9:10]
	v_rndne_f64_e32 v[15:16], v[15:16]
	s_delay_alu instid0(VALU_DEP_2) | instskip(NEXT) | instid1(VALU_DEP_3)
	v_cndmask_b32_e64 v8, 0, v8, s1
	v_cndmask_b32_e64 v7, 0, v7, s1
	s_delay_alu instid0(VALU_DEP_3) | instskip(SKIP_2) | instid1(VALU_DEP_2)
	v_fma_f64 v[17:18], v[15:16], s[72:73], v[11:12]
	v_cvt_i32_f64_e32 v3, v[15:16]
	s_mov_b32 s72, s37
	v_fma_f64 v[17:18], v[15:16], s[76:77], v[17:18]
	s_mov_b32 s76, s38
	s_delay_alu instid0(VALU_DEP_1) | instskip(NEXT) | instid1(VALU_DEP_1)
	v_fma_f64 v[19:20], v[17:18], s[82:83], s[80:81]
	v_fma_f64 v[19:20], v[17:18], v[19:20], s[84:85]
	s_delay_alu instid0(VALU_DEP_1) | instskip(NEXT) | instid1(VALU_DEP_1)
	v_fma_f64 v[19:20], v[17:18], v[19:20], s[86:87]
	v_fma_f64 v[19:20], v[17:18], v[19:20], s[88:89]
	;; [unrolled: 3-line block ×4, first 2 shown]
	s_delay_alu instid0(VALU_DEP_1) | instskip(NEXT) | instid1(VALU_DEP_1)
	v_fma_f64 v[19:20], v[17:18], v[19:20], s[98:99]
	v_fma_f64 v[19:20], v[17:18], v[19:20], 1.0
	s_delay_alu instid0(VALU_DEP_1) | instskip(SKIP_1) | instid1(VALU_DEP_2)
	v_fma_f64 v[15:16], v[17:18], v[19:20], 1.0
	v_trunc_f64_e32 v[17:18], v[1:2]
	v_ldexp_f64 v[13:14], v[15:16], v3
	v_mul_f64 v[15:16], v[1:2], 0.5
	s_delay_alu instid0(VALU_DEP_3) | instskip(NEXT) | instid1(VALU_DEP_3)
	v_cmp_eq_f64_e64 s3, v[17:18], v[1:2]
	v_cndmask_b32_e64 v3, v13, 0, s0
	s_delay_alu instid0(VALU_DEP_3) | instskip(SKIP_2) | instid1(VALU_DEP_4)
	v_trunc_f64_e32 v[9:10], v[15:16]
	v_cndmask_b32_e64 v19, v14, 0x7ff00000, s0
	v_and_b32_e32 v14, 0x7fffffff, v14
	v_cndmask_b32_e64 v11, 0, v3, s2
	v_cndmask_b32_e64 v3, v72, 0, vcc_lo
	s_delay_alu instid0(VALU_DEP_4) | instskip(NEXT) | instid1(VALU_DEP_4)
	v_cndmask_b32_e64 v12, 0, v19, s2
	v_cmp_eq_f64_e64 s1, 0x7ff00000, v[13:14]
	s_delay_alu instid0(VALU_DEP_2) | instskip(SKIP_1) | instid1(VALU_DEP_3)
	v_fma_f64 v[7:8], v[11:12], v[7:8], v[11:12]
	v_cmp_neq_f64_e64 s4, v[9:10], v[15:16]
	s_or_b32 s0, s0, s1
	v_cmp_eq_f64_e64 s1, 0, v[3:4]
	s_and_b32 s0, s2, s0
	v_cmp_gt_f64_e64 s2, 0, v[3:4]
	s_delay_alu instid0(VALU_DEP_4) | instskip(SKIP_4) | instid1(VALU_DEP_1)
	v_cndmask_b32_e64 v7, v7, v11, s0
	v_cndmask_b32_e64 v8, v8, v12, s0
	v_cmp_gt_f64_e64 s0, 0, v[1:2]
	s_and_b32 vcc_lo, s3, s4
	v_cndmask_b32_e32 v9, 0x3ff00000, v4, vcc_lo
	v_bfi_b32 v1, 0x7fffffff, v8, v9
	v_cndmask_b32_e64 v8, 0, v7, s3
	s_delay_alu instid0(VALU_DEP_2)
	v_cndmask_b32_e64 v2, 0x7ff80000, v1, s3
	v_cmp_eq_f64_e64 s3, 0x7ff00000, v[5:6]
	s_xor_b32 s0, s0, s1
	v_cndmask_b32_e32 v6, 0, v4, vcc_lo
	v_cndmask_b32_e64 v5, 0x7ff00000, 0, s0
	v_cndmask_b32_e64 v1, v1, v2, s2
	s_delay_alu instid0(VALU_DEP_2) | instskip(SKIP_2) | instid1(VALU_DEP_2)
	v_bfi_b32 v5, 0x7fffffff, v5, v6
	v_cndmask_b32_e64 v6, v7, v8, s2
	s_or_b32 vcc_lo, s3, s1
	v_cndmask_b32_e32 v5, v1, v5, vcc_lo
	s_delay_alu instid0(VALU_DEP_2) | instskip(SKIP_2) | instid1(VALU_DEP_3)
	v_cndmask_b32_e64 v2, v6, 0, vcc_lo
	v_cmp_o_f64_e32 vcc_lo, v[3:4], v[3:4]
	v_cvt_f64_i32_e32 v[0:1], v0
	v_cndmask_b32_e32 v2, 0, v2, vcc_lo
	v_cndmask_b32_e32 v3, 0x7ff80000, v5, vcc_lo
	v_cmp_eq_u32_e32 vcc_lo, s65, v46
	s_add_i32 s65, s65, 1
	s_delay_alu instid0(VALU_DEP_2) | instskip(SKIP_1) | instid1(VALU_DEP_1)
	v_mul_f64 v[0:1], v[2:3], v[0:1]
	s_or_b32 s104, vcc_lo, s104
	v_fma_f64 v[58:59], v[78:79], v[0:1], v[58:59]
	s_and_not1_b32 exec_lo, exec_lo, s104
	s_cbranch_execz .LBB0_223
.LBB0_292:                              ;   Parent Loop BB0_225 Depth=1
                                        ; =>  This Loop Header: Depth=2
                                        ;       Child Loop BB0_294 Depth 3
	v_dual_mov_b32 v79, v63 :: v_dual_mov_b32 v78, v62
	s_mov_b32 s67, exec_lo
	v_readlane_b32 s0, v187, 10
	s_delay_alu instid0(VALU_DEP_1) | instskip(NEXT) | instid1(SALU_CYCLE_1)
	s_and_b32 s0, s67, s0
	s_mov_b32 exec_lo, s0
	s_cbranch_execz .LBB0_291
; %bb.293:                              ;   in Loop: Header=BB0_292 Depth=2
	s_waitcnt vmcnt(0)
	v_dual_mov_b32 v78, 0 :: v_dual_mov_b32 v89, v88
	v_dual_mov_b32 v79, 0 :: v_dual_mov_b32 v42, v43
	s_mov_b32 s69, 0
	s_mov_b32 s42, 0
.LBB0_294:                              ;   Parent Loop BB0_225 Depth=1
                                        ;     Parent Loop BB0_292 Depth=2
                                        ; =>    This Inner Loop Header: Depth=3
	v_dual_mov_b32 v31, v40 :: v_dual_mov_b32 v0, v43
	v_mov_b32_e32 v1, s42
	s_mov_b64 s[4:5], s[22:23]
	s_mov_b64 s[6:7], s[24:25]
	;; [unrolled: 1-line block ×3, first 2 shown]
	s_mov_b32 s12, s72
	s_mov_b32 s13, s76
	;; [unrolled: 1-line block ×3, first 2 shown]
	s_getpc_b64 s[0:1]
	s_add_u32 s0, s0, _Z13cuda_binomialii@rel32@lo+4
	s_addc_u32 s1, s1, _Z13cuda_binomialii@rel32@hi+12
	s_delay_alu instid0(SALU_CYCLE_1)
	s_swappc_b64 s[30:31], s[0:1]
	v_cvt_f64_i32_e32 v[1:2], v42
	s_mov_b32 s100, s34
	s_mov_b32 s72, s74
	;; [unrolled: 1-line block ×3, first 2 shown]
	v_readlane_b32 s10, v187, 2
	v_readlane_b32 s24, v187, 0
	;; [unrolled: 1-line block ×4, first 2 shown]
	s_add_i32 s42, s42, 1
	s_mov_b64 s[22:23], s[40:41]
	s_mov_b64 s[26:27], s[44:45]
	s_mov_b32 s14, s36
	v_add_nc_u32_e32 v42, -1, v42
	v_cndmask_b32_e64 v2, v2, 0x3ff00000, s68
	v_cndmask_b32_e64 v1, v1, 0, s68
	s_delay_alu instid0(VALU_DEP_1) | instskip(SKIP_1) | instid1(VALU_DEP_2)
	v_mul_f64 v[3:4], v[1:2], 0.5
	v_cmp_eq_f64_e64 s0, 0, v[1:2]
	v_trunc_f64_e32 v[7:8], v[3:4]
	s_delay_alu instid0(VALU_DEP_2) | instskip(SKIP_1) | instid1(VALU_DEP_1)
	v_cndmask_b32_e64 v6, v154, 0x3ff00000, s0
	v_cndmask_b32_e64 v5, v155, 0, s0
	v_cmp_eq_f64_e64 s4, 0x7ff00000, v[5:6]
	s_delay_alu instid0(VALU_DEP_4) | instskip(SKIP_1) | instid1(VALU_DEP_1)
	v_cmp_neq_f64_e32 vcc_lo, v[7:8], v[3:4]
	v_frexp_mant_f64_e32 v[3:4], v[5:6]
	v_cmp_gt_f64_e64 s1, s[34:35], v[3:4]
	s_delay_alu instid0(VALU_DEP_1) | instskip(NEXT) | instid1(VALU_DEP_1)
	v_cndmask_b32_e64 v173, 0x3ff00000, 2.0, s1
	v_mul_f64 v[3:4], v[3:4], v[172:173]
	s_delay_alu instid0(VALU_DEP_1) | instskip(NEXT) | instid1(VALU_DEP_1)
	v_add_f64 v[7:8], v[3:4], 1.0
	v_rcp_f64_e32 v[9:10], v[7:8]
	s_waitcnt_depctr 0xfff
	v_fma_f64 v[11:12], -v[7:8], v[9:10], 1.0
	s_delay_alu instid0(VALU_DEP_1) | instskip(NEXT) | instid1(VALU_DEP_1)
	v_fma_f64 v[9:10], v[11:12], v[9:10], v[9:10]
	v_fma_f64 v[11:12], -v[7:8], v[9:10], 1.0
	s_delay_alu instid0(VALU_DEP_1) | instskip(SKIP_1) | instid1(VALU_DEP_1)
	v_fma_f64 v[9:10], v[11:12], v[9:10], v[9:10]
	v_add_f64 v[11:12], v[7:8], -1.0
	v_add_f64 v[11:12], v[3:4], -v[11:12]
	v_add_f64 v[3:4], v[3:4], -1.0
	s_delay_alu instid0(VALU_DEP_1) | instskip(NEXT) | instid1(VALU_DEP_1)
	v_mul_f64 v[13:14], v[3:4], v[9:10]
	v_mul_f64 v[15:16], v[7:8], v[13:14]
	s_delay_alu instid0(VALU_DEP_1) | instskip(NEXT) | instid1(VALU_DEP_1)
	v_fma_f64 v[7:8], v[13:14], v[7:8], -v[15:16]
	v_fma_f64 v[7:8], v[13:14], v[11:12], v[7:8]
	s_delay_alu instid0(VALU_DEP_1) | instskip(NEXT) | instid1(VALU_DEP_1)
	v_add_f64 v[11:12], v[15:16], v[7:8]
	v_add_f64 v[15:16], v[11:12], -v[15:16]
	s_delay_alu instid0(VALU_DEP_1) | instskip(SKIP_1) | instid1(VALU_DEP_1)
	v_add_f64 v[7:8], v[15:16], -v[7:8]
	v_add_f64 v[15:16], v[3:4], -v[11:12]
	v_add_f64 v[3:4], v[3:4], -v[15:16]
	s_delay_alu instid0(VALU_DEP_1) | instskip(NEXT) | instid1(VALU_DEP_1)
	v_add_f64 v[3:4], v[3:4], -v[11:12]
	v_add_f64 v[3:4], v[7:8], v[3:4]
	s_delay_alu instid0(VALU_DEP_1) | instskip(NEXT) | instid1(VALU_DEP_1)
	v_add_f64 v[3:4], v[15:16], v[3:4]
	v_mul_f64 v[3:4], v[9:10], v[3:4]
	s_delay_alu instid0(VALU_DEP_1) | instskip(NEXT) | instid1(VALU_DEP_1)
	v_add_f64 v[7:8], v[13:14], v[3:4]
	v_add_f64 v[9:10], v[7:8], -v[13:14]
	s_delay_alu instid0(VALU_DEP_1) | instskip(SKIP_1) | instid1(VALU_DEP_2)
	v_add_f64 v[3:4], v[3:4], -v[9:10]
	v_mul_f64 v[9:10], v[7:8], v[7:8]
	v_add_f64 v[13:14], v[3:4], v[3:4]
	s_delay_alu instid0(VALU_DEP_2) | instskip(NEXT) | instid1(VALU_DEP_1)
	v_fma_f64 v[11:12], v[7:8], v[7:8], -v[9:10]
	v_fma_f64 v[11:12], v[7:8], v[13:14], v[11:12]
	s_delay_alu instid0(VALU_DEP_1) | instskip(NEXT) | instid1(VALU_DEP_1)
	v_add_f64 v[13:14], v[9:10], v[11:12]
	v_add_f64 v[9:10], v[13:14], -v[9:10]
	v_mul_f64 v[15:16], v[7:8], v[13:14]
	s_delay_alu instid0(VALU_DEP_2) | instskip(SKIP_1) | instid1(VALU_DEP_3)
	v_add_f64 v[9:10], v[11:12], -v[9:10]
	v_fma_f64 v[11:12], v[13:14], s[52:53], s[102:103]
	v_fma_f64 v[17:18], v[13:14], v[7:8], -v[15:16]
	s_delay_alu instid0(VALU_DEP_2) | instskip(NEXT) | instid1(VALU_DEP_2)
	v_fma_f64 v[11:12], v[13:14], v[11:12], s[56:57]
	v_fma_f64 v[17:18], v[13:14], v[3:4], v[17:18]
	v_ldexp_f64 v[3:4], v[3:4], 1
	s_delay_alu instid0(VALU_DEP_3) | instskip(NEXT) | instid1(VALU_DEP_1)
	v_fma_f64 v[11:12], v[13:14], v[11:12], s[60:61]
	v_fma_f64 v[11:12], v[13:14], v[11:12], s[46:47]
	s_delay_alu instid0(VALU_DEP_1) | instskip(NEXT) | instid1(VALU_DEP_1)
	v_fma_f64 v[11:12], v[13:14], v[11:12], s[48:49]
	v_fma_f64 v[11:12], v[13:14], v[11:12], s[50:51]
	s_delay_alu instid0(VALU_DEP_1) | instskip(NEXT) | instid1(VALU_DEP_1)
	;; [unrolled: 3-line block ×3, first 2 shown]
	v_mul_f64 v[19:20], v[13:14], v[11:12]
	v_fma_f64 v[13:14], v[13:14], v[11:12], -v[19:20]
	s_delay_alu instid0(VALU_DEP_1) | instskip(SKIP_2) | instid1(VALU_DEP_3)
	v_fma_f64 v[11:12], v[9:10], v[11:12], v[13:14]
	v_fma_f64 v[9:10], v[9:10], v[7:8], v[17:18]
	v_ldexp_f64 v[7:8], v[7:8], 1
	v_add_f64 v[13:14], v[19:20], v[11:12]
	s_delay_alu instid0(VALU_DEP_1) | instskip(NEXT) | instid1(VALU_DEP_1)
	v_add_f64 v[17:18], v[13:14], -v[19:20]
	v_add_f64 v[11:12], v[11:12], -v[17:18]
	v_add_f64 v[17:18], v[13:14], s[34:35]
	s_delay_alu instid0(VALU_DEP_2) | instskip(NEXT) | instid1(VALU_DEP_2)
	v_add_f64 v[11:12], v[11:12], s[62:63]
	v_add_f64 v[19:20], v[17:18], s[100:101]
	s_delay_alu instid0(VALU_DEP_1) | instskip(NEXT) | instid1(VALU_DEP_1)
	v_add_f64 v[13:14], v[13:14], -v[19:20]
	v_add_f64 v[11:12], v[11:12], v[13:14]
	s_delay_alu instid0(VALU_DEP_1) | instskip(NEXT) | instid1(VALU_DEP_1)
	v_add_f64 v[13:14], v[17:18], v[11:12]
	v_add_f64 v[17:18], v[17:18], -v[13:14]
	s_delay_alu instid0(VALU_DEP_1) | instskip(SKIP_1) | instid1(VALU_DEP_1)
	v_add_f64 v[11:12], v[11:12], v[17:18]
	v_add_f64 v[17:18], v[15:16], v[9:10]
	v_mul_f64 v[19:20], v[17:18], v[13:14]
	v_add_f64 v[15:16], v[17:18], -v[15:16]
	s_delay_alu instid0(VALU_DEP_2) | instskip(NEXT) | instid1(VALU_DEP_2)
	v_fma_f64 v[21:22], v[17:18], v[13:14], -v[19:20]
	v_add_f64 v[9:10], v[9:10], -v[15:16]
	s_delay_alu instid0(VALU_DEP_2) | instskip(NEXT) | instid1(VALU_DEP_1)
	v_fma_f64 v[11:12], v[17:18], v[11:12], v[21:22]
	v_fma_f64 v[9:10], v[9:10], v[13:14], v[11:12]
	v_frexp_exp_i32_f64_e32 v11, v[5:6]
	s_delay_alu instid0(VALU_DEP_1) | instskip(NEXT) | instid1(VALU_DEP_1)
	v_subrev_co_ci_u32_e64 v11, s1, 0, v11, s1
	v_cvt_f64_i32_e32 v[11:12], v11
	s_delay_alu instid0(VALU_DEP_1) | instskip(NEXT) | instid1(VALU_DEP_1)
	v_mul_f64 v[13:14], v[11:12], s[74:75]
	v_fma_f64 v[15:16], v[11:12], s[74:75], -v[13:14]
	s_delay_alu instid0(VALU_DEP_1) | instskip(NEXT) | instid1(VALU_DEP_1)
	v_fma_f64 v[11:12], v[11:12], s[78:79], v[15:16]
	v_add_f64 v[15:16], v[13:14], v[11:12]
	s_delay_alu instid0(VALU_DEP_1) | instskip(NEXT) | instid1(VALU_DEP_1)
	v_add_f64 v[13:14], v[15:16], -v[13:14]
	v_add_f64 v[11:12], v[11:12], -v[13:14]
	v_add_f64 v[13:14], v[19:20], v[9:10]
	s_delay_alu instid0(VALU_DEP_1) | instskip(NEXT) | instid1(VALU_DEP_1)
	v_add_f64 v[17:18], v[13:14], -v[19:20]
	v_add_f64 v[9:10], v[9:10], -v[17:18]
	v_add_f64 v[17:18], v[7:8], v[13:14]
	s_delay_alu instid0(VALU_DEP_2) | instskip(NEXT) | instid1(VALU_DEP_2)
	v_add_f64 v[3:4], v[3:4], v[9:10]
	v_add_f64 v[7:8], v[17:18], -v[7:8]
	s_delay_alu instid0(VALU_DEP_1) | instskip(NEXT) | instid1(VALU_DEP_1)
	v_add_f64 v[7:8], v[13:14], -v[7:8]
	v_add_f64 v[3:4], v[3:4], v[7:8]
	s_delay_alu instid0(VALU_DEP_1) | instskip(NEXT) | instid1(VALU_DEP_1)
	v_add_f64 v[7:8], v[17:18], v[3:4]
	v_add_f64 v[9:10], v[7:8], -v[17:18]
	s_delay_alu instid0(VALU_DEP_1) | instskip(SKIP_1) | instid1(VALU_DEP_1)
	v_add_f64 v[3:4], v[3:4], -v[9:10]
	v_add_f64 v[9:10], v[15:16], v[7:8]
	v_add_f64 v[13:14], v[9:10], -v[15:16]
	s_delay_alu instid0(VALU_DEP_1) | instskip(SKIP_1) | instid1(VALU_DEP_1)
	v_add_f64 v[7:8], v[7:8], -v[13:14]
	v_add_f64 v[13:14], v[9:10], -v[13:14]
	;; [unrolled: 1-line block ×3, first 2 shown]
	s_delay_alu instid0(VALU_DEP_1) | instskip(SKIP_1) | instid1(VALU_DEP_1)
	v_add_f64 v[7:8], v[7:8], v[13:14]
	v_add_f64 v[13:14], v[11:12], v[3:4]
	v_add_f64 v[15:16], v[13:14], -v[11:12]
	s_delay_alu instid0(VALU_DEP_3) | instskip(NEXT) | instid1(VALU_DEP_2)
	v_add_f64 v[7:8], v[13:14], v[7:8]
	v_add_f64 v[3:4], v[3:4], -v[15:16]
	v_add_f64 v[15:16], v[13:14], -v[15:16]
	s_delay_alu instid0(VALU_DEP_1) | instskip(NEXT) | instid1(VALU_DEP_1)
	v_add_f64 v[11:12], v[11:12], -v[15:16]
	v_add_f64 v[3:4], v[3:4], v[11:12]
	v_add_f64 v[11:12], v[9:10], v[7:8]
	s_delay_alu instid0(VALU_DEP_1) | instskip(NEXT) | instid1(VALU_DEP_1)
	v_add_f64 v[9:10], v[11:12], -v[9:10]
	v_add_f64 v[7:8], v[7:8], -v[9:10]
	s_delay_alu instid0(VALU_DEP_1) | instskip(NEXT) | instid1(VALU_DEP_1)
	v_add_f64 v[3:4], v[3:4], v[7:8]
	v_add_f64 v[7:8], v[11:12], v[3:4]
	s_delay_alu instid0(VALU_DEP_1) | instskip(NEXT) | instid1(VALU_DEP_1)
	v_add_f64 v[9:10], v[7:8], -v[11:12]
	v_add_f64 v[3:4], v[3:4], -v[9:10]
	v_mul_f64 v[9:10], v[1:2], v[7:8]
	s_delay_alu instid0(VALU_DEP_1) | instskip(SKIP_1) | instid1(VALU_DEP_2)
	v_fma_f64 v[7:8], v[1:2], v[7:8], -v[9:10]
	v_cmp_class_f64_e64 s1, v[9:10], 0x204
	v_fma_f64 v[3:4], v[1:2], v[3:4], v[7:8]
	s_delay_alu instid0(VALU_DEP_1) | instskip(NEXT) | instid1(VALU_DEP_1)
	v_add_f64 v[7:8], v[9:10], v[3:4]
	v_cndmask_b32_e64 v12, v8, v10, s1
	s_delay_alu instid0(VALU_DEP_2) | instskip(SKIP_1) | instid1(VALU_DEP_2)
	v_cndmask_b32_e64 v11, v7, v9, s1
	v_add_f64 v[7:8], v[7:8], -v[9:10]
	v_cmp_neq_f64_e64 s1, 0x7ff00000, |v[11:12]|
	v_cmp_ngt_f64_e64 s2, 0xc090cc00, v[11:12]
	s_delay_alu instid0(VALU_DEP_3) | instskip(SKIP_1) | instid1(VALU_DEP_2)
	v_add_f64 v[3:4], v[3:4], -v[7:8]
	v_mul_f64 v[7:8], v[11:12], s[70:71]
	v_cndmask_b32_e64 v4, 0, v4, s1
	s_delay_alu instid0(VALU_DEP_2) | instskip(NEXT) | instid1(VALU_DEP_4)
	v_rndne_f64_e32 v[7:8], v[7:8]
	v_cndmask_b32_e64 v3, 0, v3, s1
	v_cmp_lt_f64_e64 s1, 0x40900000, v[11:12]
	s_delay_alu instid0(VALU_DEP_3) | instskip(SKIP_1) | instid1(VALU_DEP_1)
	v_fma_f64 v[9:10], v[7:8], s[72:73], v[11:12]
	s_mov_b32 s72, s37
	v_fma_f64 v[9:10], v[7:8], s[76:77], v[9:10]
	v_cvt_i32_f64_e32 v7, v[7:8]
	s_mov_b32 s76, s38
	s_delay_alu instid0(VALU_DEP_2) | instskip(NEXT) | instid1(VALU_DEP_1)
	v_fma_f64 v[13:14], v[9:10], s[82:83], s[80:81]
	v_fma_f64 v[13:14], v[9:10], v[13:14], s[84:85]
	s_delay_alu instid0(VALU_DEP_1) | instskip(NEXT) | instid1(VALU_DEP_1)
	v_fma_f64 v[13:14], v[9:10], v[13:14], s[86:87]
	v_fma_f64 v[13:14], v[9:10], v[13:14], s[88:89]
	s_delay_alu instid0(VALU_DEP_1) | instskip(NEXT) | instid1(VALU_DEP_1)
	v_fma_f64 v[13:14], v[9:10], v[13:14], s[90:91]
	v_fma_f64 v[13:14], v[9:10], v[13:14], s[92:93]
	s_delay_alu instid0(VALU_DEP_1) | instskip(NEXT) | instid1(VALU_DEP_1)
	v_fma_f64 v[13:14], v[9:10], v[13:14], s[94:95]
	v_fma_f64 v[13:14], v[9:10], v[13:14], s[96:97]
	s_delay_alu instid0(VALU_DEP_1) | instskip(NEXT) | instid1(VALU_DEP_1)
	v_fma_f64 v[13:14], v[9:10], v[13:14], s[98:99]
	v_fma_f64 v[13:14], v[9:10], v[13:14], 1.0
	s_delay_alu instid0(VALU_DEP_1) | instskip(NEXT) | instid1(VALU_DEP_1)
	v_fma_f64 v[9:10], v[9:10], v[13:14], 1.0
	v_ldexp_f64 v[7:8], v[9:10], v7
	s_delay_alu instid0(VALU_DEP_1) | instskip(SKIP_1) | instid1(VALU_DEP_1)
	v_cndmask_b32_e64 v9, v8, 0x7ff00000, s1
	v_and_b32_e32 v8, 0x7fffffff, v8
	v_cmp_eq_f64_e64 s3, 0x7ff00000, v[7:8]
	s_delay_alu instid0(VALU_DEP_3) | instskip(SKIP_2) | instid1(VALU_DEP_1)
	v_cndmask_b32_e64 v8, 0, v9, s2
	v_trunc_f64_e32 v[9:10], v[1:2]
	v_cndmask_b32_e64 v7, v7, 0, s1
	v_cndmask_b32_e64 v7, 0, v7, s2
	s_delay_alu instid0(VALU_DEP_1)
	v_fma_f64 v[3:4], v[7:8], v[3:4], v[7:8]
	s_or_b32 s1, s1, s3
	v_cmp_gt_f64_e64 s3, 0, v[1:2]
	s_and_b32 s1, s2, s1
	v_cmp_eq_f64_e64 s2, v[9:10], v[1:2]
	scratch_load_b64 v[1:2], v89, off
	v_add_nc_u32_e32 v89, 56, v89
	v_cndmask_b32_e64 v7, v3, v7, s1
	v_cndmask_b32_e64 v8, v4, v8, s1
	;; [unrolled: 1-line block ×4, first 2 shown]
	s_delay_alu instid0(VALU_DEP_1) | instskip(SKIP_4) | instid1(VALU_DEP_1)
	v_cmp_eq_f64_e64 s0, 0, v[3:4]
	v_cmp_gt_f64_e64 s1, 0, v[3:4]
	s_and_b32 vcc_lo, s2, vcc_lo
	v_cndmask_b32_e64 v9, 0, v7, s2
	v_cndmask_b32_e32 v5, 0x3ff00000, v4, vcc_lo
	v_bfi_b32 v5, 0x7fffffff, v8, v5
	v_cndmask_b32_e32 v8, 0, v4, vcc_lo
	s_xor_b32 s3, s3, s0
	v_cndmask_b32_e64 v7, v7, v9, s1
	v_cndmask_b32_e64 v6, 0x7ff00000, 0, s3
	;; [unrolled: 1-line block ×3, first 2 shown]
	s_or_b32 vcc_lo, s4, s0
	s_delay_alu instid0(VALU_DEP_2) | instskip(NEXT) | instid1(VALU_DEP_2)
	v_bfi_b32 v6, 0x7fffffff, v6, v8
	v_cndmask_b32_e64 v5, v5, v9, s1
	s_delay_alu instid0(VALU_DEP_1) | instskip(SKIP_3) | instid1(VALU_DEP_3)
	v_cndmask_b32_e32 v6, v5, v6, vcc_lo
	v_cndmask_b32_e64 v5, v7, 0, vcc_lo
	v_cmp_o_f64_e32 vcc_lo, v[3:4], v[3:4]
	v_cvt_f64_i32_e32 v[3:4], v0
	v_cndmask_b32_e32 v5, 0, v5, vcc_lo
	v_cndmask_b32_e32 v6, 0x7ff80000, v6, vcc_lo
	v_cmp_eq_u32_e32 vcc_lo, -1, v42
	s_delay_alu instid0(VALU_DEP_2) | instskip(SKIP_2) | instid1(VALU_DEP_1)
	v_mul_f64 v[3:4], v[5:6], v[3:4]
	s_or_b32 s69, vcc_lo, s69
	s_waitcnt vmcnt(0)
	v_fma_f64 v[78:79], v[1:2], v[3:4], v[78:79]
	s_and_not1_b32 exec_lo, exec_lo, s69
	s_cbranch_execnz .LBB0_294
; %bb.295:                              ;   in Loop: Header=BB0_292 Depth=2
	s_or_b32 exec_lo, exec_lo, s69
	s_branch .LBB0_291
.LBB0_296:
	s_or_b32 exec_lo, exec_lo, s39
	s_clause 0x3
	scratch_load_b128 v[56:59], off, s33 offset:932
	scratch_load_b128 v[60:63], off, s33 offset:948
	;; [unrolled: 1-line block ×4, first 2 shown]
	v_readlane_b32 s1, v187, 4
.LBB0_297:
	s_delay_alu instid0(VALU_DEP_1)
	s_or_b32 exec_lo, exec_lo, s1
	scratch_load_b64 v[1:2], off, s33 offset:924 ; 8-byte Folded Reload
	s_mov_b32 s0, 0x50429b6d
	s_mov_b32 s1, 0x3ff20dd7
	v_readlane_b32 s30, v189, 7
	v_readlane_b32 s31, v189, 8
	;; [unrolled: 1-line block ×73, first 2 shown]
	s_waitcnt vmcnt(0)
	v_cmp_gt_f64_e32 vcc_lo, 0x10000000, v[1:2]
	v_cndmask_b32_e64 v0, 0, 1, vcc_lo
	s_delay_alu instid0(VALU_DEP_1) | instskip(NEXT) | instid1(VALU_DEP_1)
	v_lshlrev_b32_e32 v0, 8, v0
	v_ldexp_f64 v[0:1], v[1:2], v0
	s_delay_alu instid0(VALU_DEP_1) | instskip(SKIP_3) | instid1(VALU_DEP_1)
	v_rsq_f64_e32 v[2:3], v[0:1]
	s_waitcnt_depctr 0xfff
	v_mul_f64 v[4:5], v[0:1], v[2:3]
	v_mul_f64 v[2:3], v[2:3], 0.5
	v_fma_f64 v[6:7], -v[2:3], v[4:5], 0.5
	s_delay_alu instid0(VALU_DEP_1) | instskip(SKIP_1) | instid1(VALU_DEP_2)
	v_fma_f64 v[4:5], v[4:5], v[6:7], v[4:5]
	v_fma_f64 v[2:3], v[2:3], v[6:7], v[2:3]
	v_fma_f64 v[6:7], -v[4:5], v[4:5], v[0:1]
	s_delay_alu instid0(VALU_DEP_1) | instskip(NEXT) | instid1(VALU_DEP_1)
	v_fma_f64 v[4:5], v[6:7], v[2:3], v[4:5]
	v_fma_f64 v[6:7], -v[4:5], v[4:5], v[0:1]
	s_delay_alu instid0(VALU_DEP_1) | instskip(SKIP_2) | instid1(VALU_DEP_2)
	v_fma_f64 v[2:3], v[6:7], v[2:3], v[4:5]
	v_cndmask_b32_e64 v4, 0, 0xffffff80, vcc_lo
	v_cmp_class_f64_e64 vcc_lo, v[0:1], 0x260
	v_ldexp_f64 v[2:3], v[2:3], v4
	s_delay_alu instid0(VALU_DEP_1) | instskip(NEXT) | instid1(VALU_DEP_1)
	v_dual_cndmask_b32 v1, v3, v1 :: v_dual_cndmask_b32 v0, v2, v0
	v_mul_f64 v[0:1], v[0:1], s[0:1]
	v_readlane_b32 s0, v189, 9
	s_delay_alu instid0(VALU_DEP_2) | instskip(NEXT) | instid1(VALU_DEP_1)
	v_mul_f64 v[0:1], v[74:75], v[0:1]
	v_mul_f64 v[0:1], v[58:59], v[0:1]
	s_delay_alu instid0(VALU_DEP_1) | instskip(NEXT) | instid1(VALU_DEP_1)
	v_mul_f64 v[0:1], v[78:79], v[0:1]
	v_mul_f64 v[0:1], v[62:63], v[0:1]
	s_delay_alu instid0(VALU_DEP_1)
	v_mul_f64 v[0:1], v[0:1], v[124:125]
	s_clause 0x1f
	scratch_load_b32 v186, off, s33
	scratch_load_b32 v185, off, s33 offset:4
	scratch_load_b32 v184, off, s33 offset:8
	scratch_load_b32 v175, off, s33 offset:12
	scratch_load_b32 v174, off, s33 offset:16
	scratch_load_b32 v173, off, s33 offset:20
	scratch_load_b32 v172, off, s33 offset:24
	scratch_load_b32 v171, off, s33 offset:28
	scratch_load_b32 v170, off, s33 offset:32
	scratch_load_b32 v169, off, s33 offset:36
	scratch_load_b32 v168, off, s33 offset:40
	scratch_load_b32 v159, off, s33 offset:44
	scratch_load_b32 v158, off, s33 offset:48
	scratch_load_b32 v157, off, s33 offset:52
	scratch_load_b32 v156, off, s33 offset:56
	scratch_load_b32 v155, off, s33 offset:60
	scratch_load_b32 v154, off, s33 offset:64
	scratch_load_b32 v153, off, s33 offset:68
	scratch_load_b32 v152, off, s33 offset:72
	scratch_load_b32 v143, off, s33 offset:76
	scratch_load_b32 v142, off, s33 offset:80
	scratch_load_b32 v141, off, s33 offset:84
	scratch_load_b32 v140, off, s33 offset:88
	scratch_load_b32 v139, off, s33 offset:92
	scratch_load_b32 v138, off, s33 offset:96
	scratch_load_b32 v137, off, s33 offset:100
	scratch_load_b32 v136, off, s33 offset:104
	scratch_load_b32 v127, off, s33 offset:108
	scratch_load_b32 v126, off, s33 offset:112
	scratch_load_b32 v125, off, s33 offset:116
	scratch_load_b32 v124, off, s33 offset:120
	scratch_load_b32 v123, off, s33 offset:124
	s_clause 0x1f
	scratch_load_b32 v122, off, s33 offset:128
	scratch_load_b32 v121, off, s33 offset:132
	;; [unrolled: 1-line block ×32, first 2 shown]
	s_clause 0xa
	scratch_load_b32 v58, off, s33 offset:256
	scratch_load_b32 v57, off, s33 offset:260
	;; [unrolled: 1-line block ×11, first 2 shown]
	s_or_saveexec_b32 s1, -1
	s_clause 0x4
	scratch_load_b32 v191, off, s33 offset:996
	scratch_load_b32 v190, off, s33 offset:1000
	;; [unrolled: 1-line block ×5, first 2 shown]
	s_mov_b32 exec_lo, s1
	s_addk_i32 s32, 0xfc00
	s_mov_b32 s33, s0
	s_waitcnt vmcnt(0)
	s_setpc_b64 s[30:31]
.LBB0_298:
	s_or_b32 exec_lo, exec_lo, s0
                                        ; implicit-def: $vgpr10_vgpr11
	s_and_not1_saveexec_b32 s2, s13
	s_cbranch_execnz .LBB0_175
.LBB0_299:
	s_or_b32 exec_lo, exec_lo, s2
                                        ; implicit-def: $vgpr10_vgpr11
	s_and_not1_saveexec_b32 s0, s12
	s_cbranch_execnz .LBB0_189
.LBB0_300:
	s_or_b32 exec_lo, exec_lo, s0
                                        ; implicit-def: $vgpr10_vgpr11
	s_and_not1_saveexec_b32 s0, s31
	s_cbranch_execnz .LBB0_203
	s_branch .LBB0_216
.Lfunc_end0:
	.size	_Z15cuda_rys_pbf_dpPKdS0_S0_S0_, .Lfunc_end0-_Z15cuda_rys_pbf_dpPKdS0_S0_S0_
                                        ; -- End function
	.section	.AMDGPU.csdata,"",@progbits
; Function info:
; codeLenInByte = 107424
; NumSgprs: 107
; NumVgprs: 192
; ScratchSize: 1024
; MemoryBound: 0
	.text
	.protected	_Z16cuda_mat_J_PI_dpPKdPKiiS0_PdS0_ ; -- Begin function _Z16cuda_mat_J_PI_dpPKdPKiiS0_PdS0_
	.globl	_Z16cuda_mat_J_PI_dpPKdPKiiS0_PdS0_
	.p2align	8
	.type	_Z16cuda_mat_J_PI_dpPKdPKiiS0_PdS0_,@function
_Z16cuda_mat_J_PI_dpPKdPKiiS0_PdS0_:    ; @_Z16cuda_mat_J_PI_dpPKdPKiiS0_PdS0_
; %bb.0:
	s_mov_b64 s[38:39], s[2:3]
	s_load_b32 s2, s[2:3], 0x10
	s_mov_b64 s[46:47], s[0:1]
	s_mov_b32 s32, 16
	s_waitcnt lgkmcnt(0)
	s_cmp_ge_i32 s13, s2
	s_cselect_b32 s0, -1, 0
	s_cmp_gt_i32 s14, s13
	s_cselect_b32 s1, -1, 0
	s_delay_alu instid0(SALU_CYCLE_1) | instskip(NEXT) | instid1(SALU_CYCLE_1)
	s_or_b32 s0, s1, s0
	s_and_b32 vcc_lo, exec_lo, s0
	s_cbranch_vccnz .LBB1_11
; %bb.1:
	s_clause 0x1
	s_load_b64 s[48:49], s[38:39], 0x8
	s_load_b64 s[0:1], s[38:39], 0x20
                                        ; implicit-def: $vgpr57 : SGPR spill to VGPR lane
	v_dual_mov_b32 v40, v0 :: v_dual_mov_b32 v1, s14
	s_add_u32 s34, s38, 48
	v_dual_mov_b32 v31, v0 :: v_dual_mov_b32 v0, s13
	s_mov_b64 s[44:45], s[4:5]
	s_addc_u32 s35, s39, 0
	s_mov_b32 s40, s13
	s_mov_b32 s42, s14
	s_mov_b64 s[4:5], s[46:47]
	s_mov_b64 s[8:9], s[34:35]
	;; [unrolled: 1-line block ×3, first 2 shown]
	s_mov_b32 s12, s13
	s_mov_b32 s13, s14
	;; [unrolled: 1-line block ×4, first 2 shown]
	s_getpc_b64 s[36:37]
	s_add_u32 s36, s36, _Z16cuda_ij2intindexii@rel32@lo+4
	s_addc_u32 s37, s37, _Z16cuda_ij2intindexii@rel32@hi+12
	s_waitcnt lgkmcnt(0)
	v_writelane_b32 v57, s0, 0
	v_writelane_b32 v57, s1, 1
	;; [unrolled: 1-line block ×3, first 2 shown]
	s_swappc_b64 s[30:31], s[36:37]
	s_ashr_i32 s41, s40, 31
	s_mov_b64 s[4:5], s[46:47]
	s_lshl_b64 s[0:1], s[40:41], 2
	s_mov_b64 s[8:9], s[34:35]
	s_add_u32 s0, s48, s0
	s_addc_u32 s1, s49, s1
	s_ashr_i32 s43, s42, 31
	s_mov_b64 s[10:11], s[44:45]
	s_lshl_b64 s[2:3], s[42:43], 2
	s_mov_b32 s12, s40
	s_add_u32 s2, s48, s2
	v_writelane_b32 v57, s48, 3
	s_addc_u32 s3, s49, s3
	s_clause 0x1
	s_load_b32 s0, s[0:1], 0x0
	s_load_b32 s1, s[2:3], 0x0
	v_mov_b32_e32 v104, v0
	v_mov_b32_e32 v31, v40
	s_mov_b32 s13, s42
	s_mov_b32 s14, s33
	v_writelane_b32 v57, s49, 4
	s_waitcnt lgkmcnt(0)
	v_dual_mov_b32 v0, s0 :: v_dual_mov_b32 v1, s1
	s_swappc_b64 s[30:31], s[36:37]
	s_load_b32 s0, s[38:39], 0x10
	v_mov_b32_e32 v106, 0
	v_and_b32_e32 v44, 0x3ff, v40
	v_bfe_u32 v45, v40, 10, 10
	s_mov_b32 s4, 0
	s_delay_alu instid0(VALU_DEP_3) | instskip(NEXT) | instid1(VALU_DEP_3)
	v_mov_b32_e32 v105, v106
	v_lshlrev_b32_e32 v1, 3, v44
	s_delay_alu instid0(VALU_DEP_1) | instskip(SKIP_4) | instid1(SALU_CYCLE_1)
	v_add_lshl_u32 v46, v1, v45, 3
	ds_store_b64 v46, v[105:106]
	s_waitcnt lgkmcnt(0)
	v_cmp_gt_i32_e32 vcc_lo, s0, v44
	s_mov_b32 s0, exec_lo
	v_writelane_b32 v57, s0, 5
	s_and_b32 s0, s0, vcc_lo
	s_delay_alu instid0(SALU_CYCLE_1)
	s_mov_b32 exec_lo, s0
	s_cbranch_execz .LBB1_9
; %bb.2:
	s_clause 0x3
	s_load_b64 s[6:7], s[38:39], 0x0
	s_load_b64 s[34:35], s[38:39], 0x28
	;; [unrolled: 1-line block ×4, first 2 shown]
	s_lshl_b32 s0, s40, 3
	v_lshlrev_b32_e32 v2, 2, v45
	s_ashr_i32 s1, s0, 31
	v_ashrrev_i32_e32 v1, 31, v0
	s_lshl_b64 s[0:1], s[0:1], 3
	v_dual_mov_b32 v138, v44 :: v_dual_lshlrev_b32 v47, 3, v45
	s_mov_b32 s48, 0x97d889bc
	s_delay_alu instid0(VALU_DEP_2) | instskip(SKIP_3) | instid1(VALU_DEP_1)
	v_lshlrev_b64 v[0:1], 3, v[0:1]
	s_mov_b32 s49, 0x3c9cd2b2
	s_waitcnt lgkmcnt(0)
	s_add_u32 s0, s6, s0
	v_add_co_u32 v136, vcc_lo, s34, v0
	v_writelane_b32 v57, s0, 6
	s_addc_u32 s0, s7, s1
	v_add_co_u32 v126, s1, s2, v2
	s_delay_alu instid0(VALU_DEP_1) | instskip(SKIP_4) | instid1(SALU_CYCLE_1)
	v_add_co_ci_u32_e64 v127, null, s3, 0, s1
	v_writelane_b32 v57, s0, 7
	s_lshl_b32 s0, s42, 3
	v_add_co_ci_u32_e32 v137, vcc_lo, s35, v1, vcc_lo
	s_ashr_i32 s1, s0, 31
	s_lshl_b64 s[0:1], s[0:1], 3
	s_delay_alu instid0(SALU_CYCLE_1) | instskip(NEXT) | instid1(SALU_CYCLE_1)
	s_add_u32 s0, s6, s0
	v_writelane_b32 v57, s0, 8
	v_writelane_b32 v57, s6, 9
	s_addc_u32 s0, s7, s1
	v_writelane_b32 v57, s7, 10
	v_writelane_b32 v57, s0, 11
	;; [unrolled: 1-line block ×17, first 2 shown]
	s_branch .LBB1_4
.LBB1_3:                                ;   in Loop: Header=BB1_4 Depth=1
	s_delay_alu instid0(VALU_DEP_1) | instskip(NEXT) | instid1(VALU_DEP_1)
	v_readlane_b32 s0, v57, 28
	s_or_b32 exec_lo, exec_lo, s0
	v_add_nc_u32_e32 v138, 8, v138
	v_readlane_b32 s0, v57, 2
	v_readlane_b32 s4, v57, 27
	s_delay_alu instid0(VALU_DEP_2) | instskip(NEXT) | instid1(VALU_DEP_2)
	v_cmp_le_i32_e32 vcc_lo, s0, v138
	s_or_b32 s4, vcc_lo, s4
	s_delay_alu instid0(SALU_CYCLE_1)
	s_and_not1_b32 exec_lo, exec_lo, s4
	s_cbranch_execz .LBB1_9
.LBB1_4:                                ; =>This Loop Header: Depth=1
                                        ;     Child Loop BB1_7 Depth 2
	v_writelane_b32 v57, s4, 27
	v_cmp_le_u32_e32 vcc_lo, v45, v138
	s_mov_b32 s0, exec_lo
	s_delay_alu instid0(SALU_CYCLE_1) | instskip(SKIP_1) | instid1(SALU_CYCLE_1)
	v_writelane_b32 v57, s0, 28
	s_and_b32 s0, s0, vcc_lo
	s_mov_b32 exec_lo, s0
	s_cbranch_execz .LBB1_3
; %bb.5:                                ;   in Loop: Header=BB1_4 Depth=1
	v_dual_mov_b32 v139, v106 :: v_dual_mov_b32 v56, v45
	v_readlane_b32 s0, v57, 3
	v_readlane_b32 s1, v57, 4
	v_lshlrev_b32_e32 v105, 3, v138
	s_delay_alu instid0(VALU_DEP_4) | instskip(SKIP_2) | instid1(VALU_DEP_2)
	v_lshlrev_b64 v[0:1], 2, v[138:139]
	v_dual_mov_b32 v140, v127 :: v_dual_mov_b32 v139, v126
	s_mov_b32 s41, 0
	v_add_co_u32 v0, vcc_lo, s0, v0
	s_delay_alu instid0(VALU_DEP_3)
	v_add_co_ci_u32_e32 v1, vcc_lo, s1, v1, vcc_lo
	v_readlane_b32 s0, v57, 9
	v_readlane_b32 s1, v57, 10
	global_load_b32 v41, v[0:1], off
	v_lshlrev_b64 v[0:1], 3, v[105:106]
	v_mov_b32_e32 v105, v47
	s_delay_alu instid0(VALU_DEP_2) | instskip(NEXT) | instid1(VALU_DEP_3)
	v_add_co_u32 v42, vcc_lo, s0, v0
	v_add_co_ci_u32_e32 v43, vcc_lo, s1, v1, vcc_lo
	s_branch .LBB1_7
.LBB1_6:                                ;   in Loop: Header=BB1_7 Depth=2
	s_or_b32 exec_lo, exec_lo, s1
	v_add_nc_u32_e32 v56, 8, v56
	v_add_co_u32 v139, s0, v139, 32
	s_delay_alu instid0(VALU_DEP_1) | instskip(NEXT) | instid1(VALU_DEP_3)
	v_add_co_ci_u32_e64 v140, s0, 0, v140, s0
	v_cmp_gt_u32_e32 vcc_lo, v56, v138
	v_add_nc_u32_e32 v105, 64, v105
	s_or_b32 s41, vcc_lo, s41
	s_delay_alu instid0(SALU_CYCLE_1)
	s_and_not1_b32 exec_lo, exec_lo, s41
	s_cbranch_execz .LBB1_3
.LBB1_7:                                ;   Parent Loop BB1_4 Depth=1
                                        ; =>  This Inner Loop Header: Depth=2
	global_load_b32 v1, v[139:140], off
	s_waitcnt vmcnt(1)
	v_dual_mov_b32 v31, v40 :: v_dual_mov_b32 v0, v41
	s_add_u32 s8, s38, 48
	s_addc_u32 s9, s39, 0
	s_mov_b64 s[4:5], s[46:47]
	s_mov_b64 s[10:11], s[44:45]
	s_mov_b32 s12, s40
	s_mov_b32 s13, s42
	;; [unrolled: 1-line block ×3, first 2 shown]
	s_getpc_b64 s[0:1]
	s_add_u32 s0, s0, _Z16cuda_ij2intindexii@rel32@lo+4
	s_addc_u32 s1, s1, _Z16cuda_ij2intindexii@rel32@hi+12
	s_delay_alu instid0(SALU_CYCLE_1) | instskip(SKIP_2) | instid1(VALU_DEP_1)
	s_swappc_b64 s[30:31], s[0:1]
	v_ashrrev_i32_e32 v1, 31, v0
	s_mov_b32 s1, exec_lo
	v_lshlrev_b64 v[0:1], 3, v[0:1]
	s_delay_alu instid0(VALU_DEP_1) | instskip(NEXT) | instid1(VALU_DEP_2)
	v_add_co_u32 v2, vcc_lo, s34, v0
	v_add_co_ci_u32_e32 v3, vcc_lo, s35, v1, vcc_lo
	v_add_co_u32 v0, vcc_lo, s36, v0
	s_clause 0x1
	global_load_b64 v[4:5], v[136:137], off
	global_load_b64 v[2:3], v[2:3], off
	v_add_co_ci_u32_e32 v1, vcc_lo, s37, v1, vcc_lo
	global_load_b64 v[141:142], v[0:1], off
	s_waitcnt vmcnt(1)
	v_mul_f64 v[0:1], v[4:5], v[2:3]
	s_waitcnt vmcnt(0)
	s_delay_alu instid0(VALU_DEP_1) | instskip(NEXT) | instid1(VALU_DEP_1)
	v_mul_f64 v[0:1], v[0:1], v[141:142]
	v_cmpx_nlt_f64_e64 |v[0:1]|, s[48:49]
	s_cbranch_execz .LBB1_6
; %bb.8:                                ;   in Loop: Header=BB1_7 Depth=2
	v_writelane_b32 v57, s1, 29
	v_lshlrev_b64 v[0:1], 3, v[105:106]
	s_add_u32 s8, s38, 48
	s_addc_u32 s9, s39, 0
	s_mov_b64 s[4:5], s[46:47]
	v_readlane_b32 s0, v57, 9
	v_readlane_b32 s2, v57, 6
	;; [unrolled: 1-line block ×3, first 2 shown]
	v_mov_b32_e32 v31, v40
	s_mov_b64 s[10:11], s[44:45]
	v_add_co_u32 v6, vcc_lo, s0, v0
	v_mov_b32_e32 v0, s2
	v_readlane_b32 s2, v57, 7
	v_add_co_ci_u32_e32 v7, vcc_lo, s1, v1, vcc_lo
	s_getpc_b64 s[0:1]
	s_add_u32 s0, s0, _Z15cuda_rys_pbf_dpPKdS0_S0_S0_@rel32@lo+4
	s_addc_u32 s1, s1, _Z15cuda_rys_pbf_dpPKdS0_S0_S0_@rel32@hi+12
	v_mov_b32_e32 v5, v43
	v_mov_b32_e32 v1, s2
	v_readlane_b32 s2, v57, 8
	s_mov_b32 s12, s40
	s_mov_b32 s13, s42
	;; [unrolled: 1-line block ×3, first 2 shown]
	v_mov_b32_e32 v4, v42
	v_mov_b32_e32 v2, s2
	v_readlane_b32 s2, v57, 11
	v_writelane_b32 v57, s41, 30
	s_delay_alu instid0(VALU_DEP_2)
	v_mov_b32_e32 v3, s2
	s_or_saveexec_b32 s105, -1
	scratch_store_b32 off, v57, off         ; 4-byte Folded Spill
	s_mov_b32 exec_lo, s105
	s_swappc_b64 s[30:31], s[0:1]
	s_or_saveexec_b32 s105, -1
	scratch_load_b32 v57, off, off          ; 4-byte Folded Reload
	s_mov_b32 exec_lo, s105
	v_mul_f64 v[0:1], v[141:142], v[0:1]
	ds_load_b64 v[2:3], v46
	v_cmp_eq_u32_e32 vcc_lo, v138, v56
	v_mov_b32_e32 v4, v106
	s_waitcnt vmcnt(0)
	v_readlane_b32 s40, v57, 15
	v_readlane_b32 s36, v57, 25
	;; [unrolled: 1-line block ×3, first 2 shown]
	v_cndmask_b32_e64 v5, 2.0, 0x3ff00000, vcc_lo
	v_readlane_b32 s46, v57, 21
	v_readlane_b32 s44, v57, 19
	;; [unrolled: 1-line block ×13, first 2 shown]
	s_mov_b32 s48, 0x97d889bc
	s_mov_b32 s49, 0x3c9cd2b2
	v_readlane_b32 s43, v57, 18
	s_waitcnt lgkmcnt(0)
	v_fma_f64 v[0:1], v[4:5], v[0:1], v[2:3]
	ds_store_b64 v46, v[0:1]
	s_branch .LBB1_6
.LBB1_9:
	s_delay_alu instid0(VALU_DEP_1) | instskip(NEXT) | instid1(VALU_DEP_1)
	v_readlane_b32 s0, v57, 5
	s_or_b32 exec_lo, exec_lo, s0
	v_or_b32_e32 v0, v44, v45
	s_waitcnt lgkmcnt(0)
	s_waitcnt_vscnt null, 0x0
	s_barrier
	buffer_gl0_inv
	s_mov_b32 s0, exec_lo
	v_cmpx_eq_u32_e32 0, v0
	s_cbranch_execz .LBB1_11
; %bb.10:
	v_mov_b32_e32 v10, 0
	v_ashrrev_i32_e32 v105, 31, v104
	v_readlane_b32 s0, v57, 0
	v_readlane_b32 s1, v57, 1
	ds_load_b128 v[0:3], v10
	ds_load_b128 v[4:7], v10 offset:16
	s_waitcnt lgkmcnt(1)
	v_add_f64 v[0:1], v[0:1], 0
	s_delay_alu instid0(VALU_DEP_1) | instskip(SKIP_1) | instid1(VALU_DEP_1)
	v_add_f64 v[0:1], v[2:3], v[0:1]
	s_waitcnt lgkmcnt(0)
	v_add_f64 v[0:1], v[4:5], v[0:1]
	s_delay_alu instid0(VALU_DEP_1) | instskip(SKIP_4) | instid1(VALU_DEP_1)
	v_add_f64 v[8:9], v[6:7], v[0:1]
	ds_load_b128 v[0:3], v10 offset:32
	ds_load_b128 v[4:7], v10 offset:48
	s_waitcnt lgkmcnt(1)
	v_add_f64 v[0:1], v[0:1], v[8:9]
	v_add_f64 v[0:1], v[2:3], v[0:1]
	s_waitcnt lgkmcnt(0)
	s_delay_alu instid0(VALU_DEP_1) | instskip(NEXT) | instid1(VALU_DEP_1)
	v_add_f64 v[0:1], v[4:5], v[0:1]
	v_add_f64 v[8:9], v[6:7], v[0:1]
	ds_load_b128 v[0:3], v10 offset:64
	ds_load_b128 v[4:7], v10 offset:80
	s_waitcnt lgkmcnt(1)
	v_add_f64 v[0:1], v[0:1], v[8:9]
	s_delay_alu instid0(VALU_DEP_1) | instskip(SKIP_1) | instid1(VALU_DEP_1)
	v_add_f64 v[0:1], v[2:3], v[0:1]
	s_waitcnt lgkmcnt(0)
	v_add_f64 v[0:1], v[4:5], v[0:1]
	s_delay_alu instid0(VALU_DEP_1) | instskip(SKIP_4) | instid1(VALU_DEP_1)
	v_add_f64 v[8:9], v[6:7], v[0:1]
	ds_load_b128 v[0:3], v10 offset:96
	ds_load_b128 v[4:7], v10 offset:112
	s_waitcnt lgkmcnt(1)
	v_add_f64 v[0:1], v[0:1], v[8:9]
	v_add_f64 v[0:1], v[2:3], v[0:1]
	s_waitcnt lgkmcnt(0)
	s_delay_alu instid0(VALU_DEP_1) | instskip(NEXT) | instid1(VALU_DEP_1)
	v_add_f64 v[0:1], v[4:5], v[0:1]
	v_add_f64 v[8:9], v[6:7], v[0:1]
	ds_load_b128 v[0:3], v10 offset:128
	ds_load_b128 v[4:7], v10 offset:144
	s_waitcnt lgkmcnt(1)
	v_add_f64 v[0:1], v[0:1], v[8:9]
	s_delay_alu instid0(VALU_DEP_1) | instskip(SKIP_1) | instid1(VALU_DEP_1)
	v_add_f64 v[0:1], v[2:3], v[0:1]
	s_waitcnt lgkmcnt(0)
	v_add_f64 v[0:1], v[4:5], v[0:1]
	s_delay_alu instid0(VALU_DEP_1) | instskip(SKIP_4) | instid1(VALU_DEP_1)
	v_add_f64 v[8:9], v[6:7], v[0:1]
	ds_load_b128 v[0:3], v10 offset:160
	ds_load_b128 v[4:7], v10 offset:176
	s_waitcnt lgkmcnt(1)
	v_add_f64 v[0:1], v[0:1], v[8:9]
	v_add_f64 v[0:1], v[2:3], v[0:1]
	s_waitcnt lgkmcnt(0)
	s_delay_alu instid0(VALU_DEP_1) | instskip(NEXT) | instid1(VALU_DEP_1)
	v_add_f64 v[0:1], v[4:5], v[0:1]
	v_add_f64 v[8:9], v[6:7], v[0:1]
	ds_load_b128 v[0:3], v10 offset:192
	ds_load_b128 v[4:7], v10 offset:208
	s_waitcnt lgkmcnt(1)
	v_add_f64 v[0:1], v[0:1], v[8:9]
	s_delay_alu instid0(VALU_DEP_1) | instskip(SKIP_1) | instid1(VALU_DEP_1)
	v_add_f64 v[0:1], v[2:3], v[0:1]
	s_waitcnt lgkmcnt(0)
	v_add_f64 v[0:1], v[4:5], v[0:1]
	s_delay_alu instid0(VALU_DEP_1) | instskip(SKIP_4) | instid1(VALU_DEP_1)
	v_add_f64 v[8:9], v[6:7], v[0:1]
	ds_load_b128 v[0:3], v10 offset:224
	ds_load_b128 v[4:7], v10 offset:240
	s_waitcnt lgkmcnt(1)
	v_add_f64 v[0:1], v[0:1], v[8:9]
	v_add_f64 v[0:1], v[2:3], v[0:1]
	s_waitcnt lgkmcnt(0)
	s_delay_alu instid0(VALU_DEP_1) | instskip(NEXT) | instid1(VALU_DEP_1)
	v_add_f64 v[0:1], v[4:5], v[0:1]
	v_add_f64 v[8:9], v[6:7], v[0:1]
	ds_load_b128 v[0:3], v10 offset:256
	ds_load_b128 v[4:7], v10 offset:272
	s_waitcnt lgkmcnt(1)
	v_add_f64 v[0:1], v[0:1], v[8:9]
	s_delay_alu instid0(VALU_DEP_1) | instskip(SKIP_1) | instid1(VALU_DEP_1)
	v_add_f64 v[0:1], v[2:3], v[0:1]
	s_waitcnt lgkmcnt(0)
	v_add_f64 v[0:1], v[4:5], v[0:1]
	s_delay_alu instid0(VALU_DEP_1) | instskip(SKIP_4) | instid1(VALU_DEP_1)
	v_add_f64 v[8:9], v[6:7], v[0:1]
	ds_load_b128 v[0:3], v10 offset:288
	ds_load_b128 v[4:7], v10 offset:304
	s_waitcnt lgkmcnt(1)
	v_add_f64 v[0:1], v[0:1], v[8:9]
	v_add_f64 v[0:1], v[2:3], v[0:1]
	s_waitcnt lgkmcnt(0)
	s_delay_alu instid0(VALU_DEP_1) | instskip(NEXT) | instid1(VALU_DEP_1)
	v_add_f64 v[0:1], v[4:5], v[0:1]
	v_add_f64 v[8:9], v[6:7], v[0:1]
	ds_load_b128 v[0:3], v10 offset:320
	ds_load_b128 v[4:7], v10 offset:336
	s_waitcnt lgkmcnt(1)
	v_add_f64 v[0:1], v[0:1], v[8:9]
	s_delay_alu instid0(VALU_DEP_1) | instskip(SKIP_1) | instid1(VALU_DEP_1)
	v_add_f64 v[0:1], v[2:3], v[0:1]
	s_waitcnt lgkmcnt(0)
	v_add_f64 v[0:1], v[4:5], v[0:1]
	s_delay_alu instid0(VALU_DEP_1) | instskip(SKIP_4) | instid1(VALU_DEP_1)
	v_add_f64 v[8:9], v[6:7], v[0:1]
	ds_load_b128 v[0:3], v10 offset:352
	ds_load_b128 v[4:7], v10 offset:368
	s_waitcnt lgkmcnt(1)
	v_add_f64 v[0:1], v[0:1], v[8:9]
	v_add_f64 v[0:1], v[2:3], v[0:1]
	s_waitcnt lgkmcnt(0)
	s_delay_alu instid0(VALU_DEP_1) | instskip(NEXT) | instid1(VALU_DEP_1)
	v_add_f64 v[0:1], v[4:5], v[0:1]
	v_add_f64 v[8:9], v[6:7], v[0:1]
	ds_load_b128 v[0:3], v10 offset:384
	ds_load_b128 v[4:7], v10 offset:400
	s_waitcnt lgkmcnt(1)
	v_add_f64 v[0:1], v[0:1], v[8:9]
	s_delay_alu instid0(VALU_DEP_1) | instskip(SKIP_1) | instid1(VALU_DEP_1)
	v_add_f64 v[0:1], v[2:3], v[0:1]
	s_waitcnt lgkmcnt(0)
	v_add_f64 v[0:1], v[4:5], v[0:1]
	s_delay_alu instid0(VALU_DEP_1) | instskip(SKIP_4) | instid1(VALU_DEP_1)
	v_add_f64 v[8:9], v[6:7], v[0:1]
	ds_load_b128 v[0:3], v10 offset:416
	ds_load_b128 v[4:7], v10 offset:432
	s_waitcnt lgkmcnt(1)
	v_add_f64 v[0:1], v[0:1], v[8:9]
	v_add_f64 v[0:1], v[2:3], v[0:1]
	s_waitcnt lgkmcnt(0)
	s_delay_alu instid0(VALU_DEP_1) | instskip(NEXT) | instid1(VALU_DEP_1)
	v_add_f64 v[0:1], v[4:5], v[0:1]
	v_add_f64 v[8:9], v[6:7], v[0:1]
	ds_load_b128 v[0:3], v10 offset:448
	ds_load_b128 v[4:7], v10 offset:464
	s_waitcnt lgkmcnt(1)
	v_add_f64 v[0:1], v[0:1], v[8:9]
	s_delay_alu instid0(VALU_DEP_1) | instskip(SKIP_1) | instid1(VALU_DEP_1)
	v_add_f64 v[0:1], v[2:3], v[0:1]
	s_waitcnt lgkmcnt(0)
	v_add_f64 v[0:1], v[4:5], v[0:1]
	s_delay_alu instid0(VALU_DEP_1) | instskip(SKIP_4) | instid1(VALU_DEP_1)
	v_add_f64 v[8:9], v[6:7], v[0:1]
	ds_load_b128 v[0:3], v10 offset:480
	ds_load_b128 v[4:7], v10 offset:496
	s_waitcnt lgkmcnt(1)
	v_add_f64 v[0:1], v[0:1], v[8:9]
	v_add_f64 v[0:1], v[2:3], v[0:1]
	v_lshlrev_b64 v[2:3], 3, v[104:105]
	s_delay_alu instid0(VALU_DEP_1) | instskip(NEXT) | instid1(VALU_DEP_2)
	v_add_co_u32 v2, vcc_lo, s0, v2
	v_add_co_ci_u32_e32 v3, vcc_lo, s1, v3, vcc_lo
	s_waitcnt lgkmcnt(0)
	s_delay_alu instid0(VALU_DEP_4) | instskip(NEXT) | instid1(VALU_DEP_1)
	v_add_f64 v[0:1], v[4:5], v[0:1]
	v_add_f64 v[0:1], v[6:7], v[0:1]
	global_store_b64 v[2:3], v[0:1], off
.LBB1_11:
	s_nop 0
	s_sendmsg sendmsg(MSG_DEALLOC_VGPRS)
	s_endpgm
	.section	.rodata,"a",@progbits
	.p2align	6, 0x0
	.amdhsa_kernel _Z16cuda_mat_J_PI_dpPKdPKiiS0_PdS0_
		.amdhsa_group_segment_fixed_size 512
		.amdhsa_private_segment_fixed_size 1040
		.amdhsa_kernarg_size 304
		.amdhsa_user_sgpr_count 13
		.amdhsa_user_sgpr_dispatch_ptr 1
		.amdhsa_user_sgpr_queue_ptr 0
		.amdhsa_user_sgpr_kernarg_segment_ptr 1
		.amdhsa_user_sgpr_dispatch_id 1
		.amdhsa_user_sgpr_private_segment_size 0
		.amdhsa_wavefront_size32 1
		.amdhsa_uses_dynamic_stack 1
		.amdhsa_enable_private_segment 1
		.amdhsa_system_sgpr_workgroup_id_x 1
		.amdhsa_system_sgpr_workgroup_id_y 1
		.amdhsa_system_sgpr_workgroup_id_z 1
		.amdhsa_system_sgpr_workgroup_info 0
		.amdhsa_system_vgpr_workitem_id 2
		.amdhsa_next_free_vgpr 192
		.amdhsa_next_free_sgpr 106
		.amdhsa_reserve_vcc 1
		.amdhsa_float_round_mode_32 0
		.amdhsa_float_round_mode_16_64 0
		.amdhsa_float_denorm_mode_32 3
		.amdhsa_float_denorm_mode_16_64 3
		.amdhsa_dx10_clamp 1
		.amdhsa_ieee_mode 1
		.amdhsa_fp16_overflow 0
		.amdhsa_workgroup_processor_mode 1
		.amdhsa_memory_ordered 1
		.amdhsa_forward_progress 0
		.amdhsa_shared_vgpr_count 0
		.amdhsa_exception_fp_ieee_invalid_op 0
		.amdhsa_exception_fp_denorm_src 0
		.amdhsa_exception_fp_ieee_div_zero 0
		.amdhsa_exception_fp_ieee_overflow 0
		.amdhsa_exception_fp_ieee_underflow 0
		.amdhsa_exception_fp_ieee_inexact 0
		.amdhsa_exception_int_div_zero 0
	.end_amdhsa_kernel
	.text
.Lfunc_end1:
	.size	_Z16cuda_mat_J_PI_dpPKdPKiiS0_PdS0_, .Lfunc_end1-_Z16cuda_mat_J_PI_dpPKdPKiiS0_PdS0_
                                        ; -- End function
	.section	.AMDGPU.csdata,"",@progbits
; Kernel info:
; codeLenInByte = 2732
; NumSgprs: 108
; NumVgprs: 192
; ScratchSize: 1040
; MemoryBound: 0
; FloatMode: 240
; IeeeMode: 1
; LDSByteSize: 512 bytes/workgroup (compile time only)
; SGPRBlocks: 13
; VGPRBlocks: 23
; NumSGPRsForWavesPerEU: 108
; NumVGPRsForWavesPerEU: 192
; Occupancy: 8
; WaveLimiterHint : 1
; COMPUTE_PGM_RSRC2:SCRATCH_EN: 1
; COMPUTE_PGM_RSRC2:USER_SGPR: 13
; COMPUTE_PGM_RSRC2:TRAP_HANDLER: 0
; COMPUTE_PGM_RSRC2:TGID_X_EN: 1
; COMPUTE_PGM_RSRC2:TGID_Y_EN: 1
; COMPUTE_PGM_RSRC2:TGID_Z_EN: 1
; COMPUTE_PGM_RSRC2:TIDIG_COMP_CNT: 2
	.text
	.protected	_Z16cuda_mat_K_PI_dpPKdPKiiS0_PdS0_ ; -- Begin function _Z16cuda_mat_K_PI_dpPKdPKiiS0_PdS0_
	.globl	_Z16cuda_mat_K_PI_dpPKdPKiiS0_PdS0_
	.p2align	8
	.type	_Z16cuda_mat_K_PI_dpPKdPKiiS0_PdS0_,@function
_Z16cuda_mat_K_PI_dpPKdPKiiS0_PdS0_:    ; @_Z16cuda_mat_K_PI_dpPKdPKiiS0_PdS0_
; %bb.0:
	s_load_b32 s48, s[2:3], 0x10
	s_mov_b64 s[46:47], s[0:1]
	s_mov_b32 s32, 16
	s_waitcnt lgkmcnt(0)
	s_cmp_ge_i32 s13, s48
	s_cselect_b32 s0, -1, 0
	s_cmp_gt_i32 s14, s13
	s_cselect_b32 s1, -1, 0
	s_delay_alu instid0(SALU_CYCLE_1) | instskip(NEXT) | instid1(SALU_CYCLE_1)
	s_or_b32 s0, s1, s0
	s_and_b32 vcc_lo, exec_lo, s0
	s_cbranch_vccnz .LBB2_11
; %bb.1:
	s_load_b64 s[0:1], s[2:3], 0x20
                                        ; implicit-def: $vgpr60 : SGPR spill to VGPR lane
	s_mov_b64 s[38:39], s[2:3]
	v_dual_mov_b32 v40, v0 :: v_dual_mov_b32 v1, s14
	v_dual_mov_b32 v31, v0 :: v_dual_mov_b32 v0, s13
	s_mov_b64 s[44:45], s[4:5]
	s_add_u32 s8, s38, 48
	s_mov_b32 s40, s13
	s_mov_b32 s42, s14
	s_addc_u32 s9, s39, 0
	s_mov_b64 s[4:5], s[46:47]
	s_mov_b64 s[10:11], s[44:45]
	s_mov_b32 s12, s13
	s_mov_b32 s13, s14
	;; [unrolled: 1-line block ×4, first 2 shown]
	s_waitcnt lgkmcnt(0)
	v_writelane_b32 v60, s0, 0
	v_writelane_b32 v60, s1, 1
	s_getpc_b64 s[0:1]
	s_add_u32 s0, s0, _Z16cuda_ij2intindexii@rel32@lo+4
	s_addc_u32 s1, s1, _Z16cuda_ij2intindexii@rel32@hi+12
	s_delay_alu instid0(SALU_CYCLE_1)
	s_swappc_b64 s[30:31], s[0:1]
	v_and_b32_e32 v46, 0x3ff, v40
	v_bfe_u32 v47, v40, 10, 10
	v_mov_b32_e32 v106, 0
	v_mov_b32_e32 v104, v0
	s_mov_b32 s4, 0
	v_lshlrev_b32_e32 v0, 3, v46
	v_cmp_gt_i32_e32 vcc_lo, s48, v46
	v_mov_b32_e32 v105, v106
	s_delay_alu instid0(VALU_DEP_3) | instskip(SKIP_2) | instid1(SALU_CYCLE_1)
	v_add_lshl_u32 v56, v0, v47, 3
	ds_store_b64 v56, v[105:106]
	s_mov_b32 s0, exec_lo
	v_writelane_b32 v60, s0, 2
	s_or_saveexec_b32 s105, -1
	scratch_store_b32 off, v60, off         ; 4-byte Folded Spill
	s_mov_b32 exec_lo, s105
	s_and_b32 s0, s0, vcc_lo
	s_delay_alu instid0(SALU_CYCLE_1)
	s_mov_b32 exec_lo, s0
	s_cbranch_execz .LBB2_9
; %bb.2:
	s_clause 0x1
	s_load_b128 s[8:11], s[38:39], 0x0
	s_load_b64 s[50:51], s[38:39], 0x18
	s_lshl_b32 s0, s40, 3
	s_mov_b32 s105, exec_lo
	s_ashr_i32 s1, s0, 31
	s_delay_alu instid0(SALU_CYCLE_1)
	s_lshl_b64 s[0:1], s[0:1], 3
	s_waitcnt lgkmcnt(0)
	s_add_u32 s0, s8, s0
	s_mov_b32 exec_lo, -1
	scratch_load_b32 v60, off, off          ; 4-byte Folded Reload
	s_mov_b32 exec_lo, s105
	s_waitcnt vmcnt(0)
	v_writelane_b32 v60, s0, 3
	s_addc_u32 s0, s9, s1
	v_lshlrev_b32_e32 v0, 2, v47
	s_load_b64 s[52:53], s[38:39], 0x28
	v_dual_mov_b32 v136, v46 :: v_dual_lshlrev_b32 v57, 3, v47
	v_writelane_b32 v60, s0, 4
	s_lshl_b32 s0, s42, 3
	s_mov_b32 s54, 0x97d889bc
	s_ashr_i32 s1, s0, 31
	s_mov_b32 s55, 0x3c9cd2b2
	s_lshl_b64 s[0:1], s[0:1], 3
	s_delay_alu instid0(SALU_CYCLE_1) | instskip(NEXT) | instid1(SALU_CYCLE_1)
	s_add_u32 s0, s8, s0
	v_writelane_b32 v60, s0, 5
	s_addc_u32 s0, s9, s1
	s_ashr_i32 s41, s40, 31
	v_writelane_b32 v60, s0, 6
	s_lshl_b64 s[0:1], s[40:41], 2
	s_delay_alu instid0(SALU_CYCLE_1) | instskip(SKIP_4) | instid1(SALU_CYCLE_1)
	s_add_u32 s0, s10, s0
	s_addc_u32 s1, s11, s1
	s_ashr_i32 s43, s42, 31
	s_load_b32 s0, s[0:1], 0x0
	s_lshl_b64 s[2:3], s[42:43], 2
	s_add_u32 s2, s10, s2
	s_addc_u32 s3, s11, s3
	s_load_b32 s41, s[2:3], 0x0
	s_waitcnt lgkmcnt(0)
	v_writelane_b32 v60, s0, 7
	v_cmp_gt_u32_e64 s0, s48, v47
	s_delay_alu instid0(VALU_DEP_1)
	v_writelane_b32 v60, s0, 8
	v_add_co_u32 v126, s0, s10, v0
	v_writelane_b32 v60, s8, 9
	v_add_co_ci_u32_e64 v127, null, s11, 0, s0
	v_writelane_b32 v60, s9, 10
	v_writelane_b32 v60, s10, 11
	;; [unrolled: 1-line block ×20, first 2 shown]
	s_or_saveexec_b32 s105, -1
	scratch_store_b32 off, v60, off         ; 4-byte Folded Spill
	s_mov_b32 exec_lo, s105
	s_branch .LBB2_4
.LBB2_3:                                ;   in Loop: Header=BB2_4 Depth=1
	s_or_saveexec_b32 s105, -1
	scratch_load_b32 v60, off, off          ; 4-byte Folded Reload
	s_mov_b32 exec_lo, s105
	s_waitcnt vmcnt(0)
	v_readlane_b32 s0, v60, 31
	s_delay_alu instid0(VALU_DEP_1) | instskip(SKIP_2) | instid1(VALU_DEP_2)
	s_or_b32 exec_lo, exec_lo, s0
	v_add_nc_u32_e32 v136, 8, v136
	v_readlane_b32 s4, v60, 30
	v_cmp_le_i32_e32 vcc_lo, s48, v136
	s_delay_alu instid0(VALU_DEP_2) | instskip(NEXT) | instid1(SALU_CYCLE_1)
	s_or_b32 s4, vcc_lo, s4
	s_and_not1_b32 exec_lo, exec_lo, s4
	s_cbranch_execz .LBB2_9
.LBB2_4:                                ; =>This Loop Header: Depth=1
                                        ;     Child Loop BB2_7 Depth 2
	s_or_saveexec_b32 s105, -1
	scratch_load_b32 v60, off, off          ; 4-byte Folded Reload
	s_mov_b32 exec_lo, s105
	s_waitcnt vmcnt(0)
	v_writelane_b32 v60, s4, 30
	v_mov_b32_e32 v137, v106
	v_mov_b32_e32 v31, v40
	s_add_u32 s8, s38, 48
	s_addc_u32 s9, s39, 0
	v_readlane_b32 s0, v60, 9
	v_lshlrev_b64 v[0:1], 2, v[136:137]
	v_readlane_b32 s2, v60, 11
	v_readlane_b32 s3, v60, 12
	s_mov_b64 s[4:5], s[46:47]
	s_mov_b64 s[10:11], s[44:45]
	s_mov_b32 s12, s40
	v_add_co_u32 v0, vcc_lo, s2, v0
	v_add_co_ci_u32_e32 v1, vcc_lo, s3, v1, vcc_lo
	v_readlane_b32 s2, v60, 7
	s_mov_b32 s13, s42
	s_mov_b32 s14, s33
	global_load_b32 v41, v[0:1], off
	v_readlane_b32 s1, v60, 10
	v_mov_b32_e32 v0, s2
	s_getpc_b64 s[0:1]
	s_add_u32 s0, s0, _Z16cuda_ij2intindexii@rel32@lo+4
	s_addc_u32 s1, s1, _Z16cuda_ij2intindexii@rel32@hi+12
	s_waitcnt vmcnt(0)
	v_mov_b32_e32 v1, v41
	s_swappc_b64 s[30:31], s[0:1]
	s_mov_b32 s1, exec_lo
	v_readlane_b32 s0, v60, 8
	v_writelane_b32 v60, s1, 31
	s_or_saveexec_b32 s105, -1
	scratch_store_b32 off, v60, off         ; 4-byte Folded Spill
	s_mov_b32 exec_lo, s105
	s_and_b32 s0, s1, s0
	s_delay_alu instid0(SALU_CYCLE_1)
	s_mov_b32 exec_lo, s0
	s_cbranch_execz .LBB2_3
; %bb.5:                                ;   in Loop: Header=BB2_4 Depth=1
	v_lshlrev_b32_e32 v105, 3, v136
	v_ashrrev_i32_e32 v1, 31, v0
	s_delay_alu instid0(VALU_DEP_2) | instskip(NEXT) | instid1(VALU_DEP_2)
	v_lshlrev_b64 v[2:3], 3, v[105:106]
	v_lshlrev_b64 v[0:1], 3, v[0:1]
	s_or_saveexec_b32 s105, -1
	scratch_load_b32 v60, off, off          ; 4-byte Folded Reload
	s_mov_b32 exec_lo, s105
	s_waitcnt vmcnt(0)
	v_readlane_b32 s0, v60, 9
	v_readlane_b32 s1, v60, 10
	v_dual_mov_b32 v105, v57 :: v_dual_mov_b32 v140, v127
	v_dual_mov_b32 v139, v126 :: v_dual_mov_b32 v58, v47
	s_delay_alu instid0(VALU_DEP_4) | instskip(NEXT) | instid1(VALU_DEP_4)
	v_add_co_u32 v42, vcc_lo, s0, v2
	v_add_co_ci_u32_e32 v43, vcc_lo, s1, v3, vcc_lo
	v_add_co_u32 v137, vcc_lo, s52, v0
	v_add_co_ci_u32_e32 v138, vcc_lo, s53, v1, vcc_lo
	s_mov_b32 s43, 0
	v_readlane_b32 s2, v60, 11
	v_readlane_b32 s3, v60, 12
	s_branch .LBB2_7
.LBB2_6:                                ;   in Loop: Header=BB2_7 Depth=2
	s_or_b32 exec_lo, exec_lo, s1
	v_add_nc_u32_e32 v58, 8, v58
	v_add_co_u32 v139, s0, v139, 32
	s_delay_alu instid0(VALU_DEP_1) | instskip(NEXT) | instid1(VALU_DEP_3)
	v_add_co_ci_u32_e64 v140, s0, 0, v140, s0
	v_cmp_le_i32_e32 vcc_lo, s48, v58
	v_add_nc_u32_e32 v105, 64, v105
	s_or_b32 s43, vcc_lo, s43
	s_delay_alu instid0(SALU_CYCLE_1)
	s_and_not1_b32 exec_lo, exec_lo, s43
	s_cbranch_execz .LBB2_3
.LBB2_7:                                ;   Parent Loop BB2_4 Depth=1
                                        ; =>  This Inner Loop Header: Depth=2
	global_load_b32 v45, v[139:140], off
	s_add_u32 s34, s38, 48
	v_dual_mov_b32 v31, v40 :: v_dual_mov_b32 v0, s41
	s_addc_u32 s35, s39, 0
	s_mov_b64 s[4:5], s[46:47]
	s_mov_b64 s[8:9], s[34:35]
	;; [unrolled: 1-line block ×3, first 2 shown]
	s_mov_b32 s12, s40
	s_mov_b32 s13, s42
	;; [unrolled: 1-line block ×3, first 2 shown]
	s_getpc_b64 s[36:37]
	s_add_u32 s36, s36, _Z16cuda_ij2intindexii@rel32@lo+4
	s_addc_u32 s37, s37, _Z16cuda_ij2intindexii@rel32@hi+12
	s_waitcnt vmcnt(0)
	v_mov_b32_e32 v1, v45
	s_swappc_b64 s[30:31], s[36:37]
	v_dual_mov_b32 v44, v0 :: v_dual_mov_b32 v1, v45
	v_dual_mov_b32 v31, v40 :: v_dual_mov_b32 v0, v41
	s_mov_b64 s[4:5], s[46:47]
	s_mov_b64 s[8:9], s[34:35]
	s_mov_b64 s[10:11], s[44:45]
	s_mov_b32 s12, s40
	s_mov_b32 s13, s42
	;; [unrolled: 1-line block ×3, first 2 shown]
	s_swappc_b64 s[30:31], s[36:37]
	v_ashrrev_i32_e32 v45, 31, v44
	s_mov_b32 s1, exec_lo
	s_delay_alu instid0(VALU_DEP_1) | instskip(NEXT) | instid1(VALU_DEP_1)
	v_lshlrev_b64 v[1:2], 3, v[44:45]
	v_add_co_u32 v1, vcc_lo, s52, v1
	s_delay_alu instid0(VALU_DEP_2) | instskip(SKIP_4) | instid1(VALU_DEP_1)
	v_add_co_ci_u32_e32 v2, vcc_lo, s53, v2, vcc_lo
	s_clause 0x1
	global_load_b64 v[3:4], v[137:138], off
	global_load_b64 v[5:6], v[1:2], off
	v_ashrrev_i32_e32 v1, 31, v0
	v_lshlrev_b64 v[0:1], 3, v[0:1]
	s_delay_alu instid0(VALU_DEP_1) | instskip(NEXT) | instid1(VALU_DEP_2)
	v_add_co_u32 v0, vcc_lo, s50, v0
	v_add_co_ci_u32_e32 v1, vcc_lo, s51, v1, vcc_lo
	global_load_b64 v[141:142], v[0:1], off
	s_waitcnt vmcnt(1)
	v_mul_f64 v[0:1], v[3:4], v[5:6]
	s_waitcnt vmcnt(0)
	s_delay_alu instid0(VALU_DEP_1) | instskip(NEXT) | instid1(VALU_DEP_1)
	v_mul_f64 v[0:1], v[0:1], v[141:142]
	v_cmpx_nlt_f64_e64 |v[0:1]|, s[54:55]
	s_cbranch_execz .LBB2_6
; %bb.8:                                ;   in Loop: Header=BB2_7 Depth=2
	s_add_u32 s8, s38, 48
                                        ; implicit-def: $vgpr60 : SGPR spill to VGPR lane
	v_lshlrev_b64 v[0:1], 3, v[105:106]
	s_addc_u32 s9, s39, 0
	v_writelane_b32 v60, s1, 0
	s_or_saveexec_b32 s105, -1
	s_delay_alu instid0(VALU_DEP_1)
	v_mov_b32_e32 v59, v60
	s_mov_b32 exec_lo, s105
	s_or_saveexec_b32 s105, -1
	scratch_load_b32 v60, off, off          ; 4-byte Folded Reload
	s_mov_b32 exec_lo, s105
	s_waitcnt vmcnt(0)
	v_readlane_b32 s0, v60, 9
	v_readlane_b32 s1, v60, 10
	;; [unrolled: 1-line block ×4, first 2 shown]
	s_or_saveexec_b32 s105, -1
	s_delay_alu instid0(SALU_CYCLE_1) | instskip(SKIP_4) | instid1(VALU_DEP_4)
	s_mov_b32 exec_lo, s105
	v_readlane_b32 s2, v60, 3
	v_add_co_u32 v6, vcc_lo, s0, v0
	v_mov_b32_e32 v31, v40
	v_add_co_ci_u32_e32 v7, vcc_lo, s1, v1, vcc_lo
	v_mov_b32_e32 v0, s2
	v_readlane_b32 s2, v60, 4
	s_getpc_b64 s[0:1]
	s_add_u32 s0, s0, _Z15cuda_rys_pbf_dpPKdS0_S0_S0_@rel32@lo+4
	s_addc_u32 s1, s1, _Z15cuda_rys_pbf_dpPKdS0_S0_S0_@rel32@hi+12
	s_mov_b64 s[4:5], s[46:47]
	s_mov_b64 s[10:11], s[44:45]
	v_dual_mov_b32 v2, v42 :: v_dual_mov_b32 v1, s2
	v_readlane_b32 s2, v60, 5
	v_mov_b32_e32 v3, v43
	s_mov_b32 s12, s40
	s_mov_b32 s13, s42
	;; [unrolled: 1-line block ×3, first 2 shown]
	v_mov_b32_e32 v4, s2
	v_readlane_b32 s2, v60, 6
	v_writelane_b32 v59, s43, 1
	s_delay_alu instid0(VALU_DEP_2)
	v_mov_b32_e32 v5, s2
	s_or_saveexec_b32 s105, -1
	scratch_store_b32 off, v59, off offset:4 ; 4-byte Folded Spill
	s_mov_b32 exec_lo, s105
	s_swappc_b64 s[30:31], s[0:1]
	s_or_saveexec_b32 s105, -1
	scratch_load_b32 v59, off, off offset:4 ; 4-byte Folded Reload
	s_mov_b32 exec_lo, s105
	s_waitcnt vmcnt(0)
	v_readlane_b32 s1, v59, 0
	s_mov_b32 s54, 0x97d889bc
	s_mov_b32 s55, 0x3c9cd2b2
	s_or_saveexec_b32 s105, -1
	scratch_load_b32 v60, off, off          ; 4-byte Folded Reload
	s_mov_b32 exec_lo, s105
	ds_load_b64 v[2:3], v56
	s_waitcnt vmcnt(0)
	v_readlane_b32 s42, v60, 18
	v_readlane_b32 s40, v60, 16
	;; [unrolled: 1-line block ×18, first 2 shown]
	s_waitcnt lgkmcnt(0)
	v_fma_f64 v[0:1], v[141:142], v[0:1], v[2:3]
	ds_store_b64 v56, v[0:1]
	s_branch .LBB2_6
.LBB2_9:
	s_or_saveexec_b32 s105, -1
	scratch_load_b32 v60, off, off          ; 4-byte Folded Reload
	s_mov_b32 exec_lo, s105
	s_waitcnt vmcnt(0)
	v_readlane_b32 s0, v60, 2
	s_delay_alu instid0(VALU_DEP_1)
	s_or_b32 exec_lo, exec_lo, s0
	v_or_b32_e32 v0, v46, v47
	s_waitcnt lgkmcnt(0)
	s_waitcnt_vscnt null, 0x0
	s_barrier
	buffer_gl0_inv
	s_mov_b32 s0, exec_lo
	v_cmpx_eq_u32_e32 0, v0
	s_cbranch_execz .LBB2_11
; %bb.10:
	v_mov_b32_e32 v10, 0
	v_ashrrev_i32_e32 v105, 31, v104
	ds_load_b128 v[0:3], v10
	ds_load_b128 v[4:7], v10 offset:16
	s_waitcnt lgkmcnt(1)
	v_add_f64 v[0:1], v[0:1], 0
	s_delay_alu instid0(VALU_DEP_1) | instskip(SKIP_1) | instid1(VALU_DEP_1)
	v_add_f64 v[0:1], v[2:3], v[0:1]
	s_waitcnt lgkmcnt(0)
	v_add_f64 v[0:1], v[4:5], v[0:1]
	s_delay_alu instid0(VALU_DEP_1) | instskip(SKIP_4) | instid1(VALU_DEP_1)
	v_add_f64 v[8:9], v[6:7], v[0:1]
	ds_load_b128 v[0:3], v10 offset:32
	ds_load_b128 v[4:7], v10 offset:48
	s_waitcnt lgkmcnt(1)
	v_add_f64 v[0:1], v[0:1], v[8:9]
	v_add_f64 v[0:1], v[2:3], v[0:1]
	s_waitcnt lgkmcnt(0)
	s_delay_alu instid0(VALU_DEP_1) | instskip(NEXT) | instid1(VALU_DEP_1)
	v_add_f64 v[0:1], v[4:5], v[0:1]
	v_add_f64 v[8:9], v[6:7], v[0:1]
	ds_load_b128 v[0:3], v10 offset:64
	ds_load_b128 v[4:7], v10 offset:80
	s_waitcnt lgkmcnt(1)
	v_add_f64 v[0:1], v[0:1], v[8:9]
	s_delay_alu instid0(VALU_DEP_1) | instskip(SKIP_1) | instid1(VALU_DEP_1)
	v_add_f64 v[0:1], v[2:3], v[0:1]
	s_waitcnt lgkmcnt(0)
	v_add_f64 v[0:1], v[4:5], v[0:1]
	s_delay_alu instid0(VALU_DEP_1) | instskip(SKIP_4) | instid1(VALU_DEP_1)
	v_add_f64 v[8:9], v[6:7], v[0:1]
	ds_load_b128 v[0:3], v10 offset:96
	ds_load_b128 v[4:7], v10 offset:112
	s_waitcnt lgkmcnt(1)
	v_add_f64 v[0:1], v[0:1], v[8:9]
	v_add_f64 v[0:1], v[2:3], v[0:1]
	s_waitcnt lgkmcnt(0)
	s_delay_alu instid0(VALU_DEP_1) | instskip(NEXT) | instid1(VALU_DEP_1)
	v_add_f64 v[0:1], v[4:5], v[0:1]
	v_add_f64 v[8:9], v[6:7], v[0:1]
	ds_load_b128 v[0:3], v10 offset:128
	;; [unrolled: 19-line block ×7, first 2 shown]
	ds_load_b128 v[4:7], v10 offset:464
	s_waitcnt lgkmcnt(1)
	v_add_f64 v[0:1], v[0:1], v[8:9]
	s_delay_alu instid0(VALU_DEP_1) | instskip(SKIP_1) | instid1(VALU_DEP_1)
	v_add_f64 v[0:1], v[2:3], v[0:1]
	s_waitcnt lgkmcnt(0)
	v_add_f64 v[0:1], v[4:5], v[0:1]
	s_delay_alu instid0(VALU_DEP_1) | instskip(SKIP_4) | instid1(VALU_DEP_1)
	v_add_f64 v[8:9], v[6:7], v[0:1]
	ds_load_b128 v[0:3], v10 offset:480
	ds_load_b128 v[4:7], v10 offset:496
	s_waitcnt lgkmcnt(1)
	v_add_f64 v[0:1], v[0:1], v[8:9]
	v_add_f64 v[0:1], v[2:3], v[0:1]
	v_lshlrev_b64 v[2:3], 3, v[104:105]
	s_waitcnt lgkmcnt(0)
	s_delay_alu instid0(VALU_DEP_2) | instskip(NEXT) | instid1(VALU_DEP_1)
	v_add_f64 v[0:1], v[4:5], v[0:1]
	v_add_f64 v[0:1], v[6:7], v[0:1]
	s_or_saveexec_b32 s105, -1
	scratch_load_b32 v60, off, off          ; 4-byte Folded Reload
	s_mov_b32 exec_lo, s105
	s_waitcnt vmcnt(0)
	v_readlane_b32 s0, v60, 0
	v_readlane_b32 s1, v60, 1
	s_delay_alu instid0(VALU_DEP_2) | instskip(NEXT) | instid1(VALU_DEP_2)
	v_add_co_u32 v2, vcc_lo, s0, v2
	v_add_co_ci_u32_e32 v3, vcc_lo, s1, v3, vcc_lo
	global_store_b64 v[2:3], v[0:1], off
.LBB2_11:
	s_nop 0
	s_sendmsg sendmsg(MSG_DEALLOC_VGPRS)
	s_endpgm
	.section	.rodata,"a",@progbits
	.p2align	6, 0x0
	.amdhsa_kernel _Z16cuda_mat_K_PI_dpPKdPKiiS0_PdS0_
		.amdhsa_group_segment_fixed_size 512
		.amdhsa_private_segment_fixed_size 1040
		.amdhsa_kernarg_size 304
		.amdhsa_user_sgpr_count 13
		.amdhsa_user_sgpr_dispatch_ptr 1
		.amdhsa_user_sgpr_queue_ptr 0
		.amdhsa_user_sgpr_kernarg_segment_ptr 1
		.amdhsa_user_sgpr_dispatch_id 1
		.amdhsa_user_sgpr_private_segment_size 0
		.amdhsa_wavefront_size32 1
		.amdhsa_uses_dynamic_stack 1
		.amdhsa_enable_private_segment 1
		.amdhsa_system_sgpr_workgroup_id_x 1
		.amdhsa_system_sgpr_workgroup_id_y 1
		.amdhsa_system_sgpr_workgroup_id_z 1
		.amdhsa_system_sgpr_workgroup_info 0
		.amdhsa_system_vgpr_workitem_id 2
		.amdhsa_next_free_vgpr 192
		.amdhsa_next_free_sgpr 106
		.amdhsa_reserve_vcc 1
		.amdhsa_float_round_mode_32 0
		.amdhsa_float_round_mode_16_64 0
		.amdhsa_float_denorm_mode_32 3
		.amdhsa_float_denorm_mode_16_64 3
		.amdhsa_dx10_clamp 1
		.amdhsa_ieee_mode 1
		.amdhsa_fp16_overflow 0
		.amdhsa_workgroup_processor_mode 1
		.amdhsa_memory_ordered 1
		.amdhsa_forward_progress 0
		.amdhsa_shared_vgpr_count 0
		.amdhsa_exception_fp_ieee_invalid_op 0
		.amdhsa_exception_fp_denorm_src 0
		.amdhsa_exception_fp_ieee_div_zero 0
		.amdhsa_exception_fp_ieee_overflow 0
		.amdhsa_exception_fp_ieee_underflow 0
		.amdhsa_exception_fp_ieee_inexact 0
		.amdhsa_exception_int_div_zero 0
	.end_amdhsa_kernel
	.text
.Lfunc_end2:
	.size	_Z16cuda_mat_K_PI_dpPKdPKiiS0_PdS0_, .Lfunc_end2-_Z16cuda_mat_K_PI_dpPKdPKiiS0_PdS0_
                                        ; -- End function
	.section	.AMDGPU.csdata,"",@progbits
; Kernel info:
; codeLenInByte = 3096
; NumSgprs: 108
; NumVgprs: 192
; ScratchSize: 1040
; MemoryBound: 0
; FloatMode: 240
; IeeeMode: 1
; LDSByteSize: 512 bytes/workgroup (compile time only)
; SGPRBlocks: 13
; VGPRBlocks: 23
; NumSGPRsForWavesPerEU: 108
; NumVGPRsForWavesPerEU: 192
; Occupancy: 8
; WaveLimiterHint : 1
; COMPUTE_PGM_RSRC2:SCRATCH_EN: 1
; COMPUTE_PGM_RSRC2:USER_SGPR: 13
; COMPUTE_PGM_RSRC2:TRAP_HANDLER: 0
; COMPUTE_PGM_RSRC2:TGID_X_EN: 1
; COMPUTE_PGM_RSRC2:TGID_Y_EN: 1
; COMPUTE_PGM_RSRC2:TGID_Z_EN: 1
; COMPUTE_PGM_RSRC2:TIDIG_COMP_CNT: 2
	.text
	.p2alignl 7, 3214868480
	.fill 96, 4, 3214868480
	.type	__hip_cuid_e0ef1d93337fa3d8,@object ; @__hip_cuid_e0ef1d93337fa3d8
	.section	.bss,"aw",@nobits
	.globl	__hip_cuid_e0ef1d93337fa3d8
__hip_cuid_e0ef1d93337fa3d8:
	.byte	0                               ; 0x0
	.size	__hip_cuid_e0ef1d93337fa3d8, 1

	.hidden	_Z13cuda_binomialii
	.hidden	_Z16cuda_ij2intindexii
	.ident	"AMD clang version 19.0.0git (https://github.com/RadeonOpenCompute/llvm-project roc-6.4.0 25133 c7fe45cf4b819c5991fe208aaa96edf142730f1d)"
	.section	".note.GNU-stack","",@progbits
	.addrsig
	.addrsig_sym __hip_cuid_e0ef1d93337fa3d8
	.amdgpu_metadata
---
amdhsa.kernels:
  - .args:
      - .actual_access:  read_only
        .address_space:  global
        .offset:         0
        .size:           8
        .value_kind:     global_buffer
      - .actual_access:  read_only
        .address_space:  global
        .offset:         8
        .size:           8
        .value_kind:     global_buffer
      - .offset:         16
        .size:           4
        .value_kind:     by_value
      - .actual_access:  read_only
        .address_space:  global
        .offset:         24
        .size:           8
        .value_kind:     global_buffer
      - .actual_access:  write_only
        .address_space:  global
        .offset:         32
        .size:           8
        .value_kind:     global_buffer
      - .actual_access:  read_only
        .address_space:  global
        .offset:         40
        .size:           8
        .value_kind:     global_buffer
      - .offset:         48
        .size:           4
        .value_kind:     hidden_block_count_x
      - .offset:         52
        .size:           4
        .value_kind:     hidden_block_count_y
      - .offset:         56
        .size:           4
        .value_kind:     hidden_block_count_z
      - .offset:         60
        .size:           2
        .value_kind:     hidden_group_size_x
      - .offset:         62
        .size:           2
        .value_kind:     hidden_group_size_y
      - .offset:         64
        .size:           2
        .value_kind:     hidden_group_size_z
      - .offset:         66
        .size:           2
        .value_kind:     hidden_remainder_x
      - .offset:         68
        .size:           2
        .value_kind:     hidden_remainder_y
      - .offset:         70
        .size:           2
        .value_kind:     hidden_remainder_z
      - .offset:         88
        .size:           8
        .value_kind:     hidden_global_offset_x
      - .offset:         96
        .size:           8
        .value_kind:     hidden_global_offset_y
      - .offset:         104
        .size:           8
        .value_kind:     hidden_global_offset_z
      - .offset:         112
        .size:           2
        .value_kind:     hidden_grid_dims
      - .offset:         128
        .size:           8
        .value_kind:     hidden_hostcall_buffer
      - .offset:         136
        .size:           8
        .value_kind:     hidden_multigrid_sync_arg
      - .offset:         144
        .size:           8
        .value_kind:     hidden_heap_v1
      - .offset:         152
        .size:           8
        .value_kind:     hidden_default_queue
      - .offset:         160
        .size:           8
        .value_kind:     hidden_completion_action
      - .offset:         248
        .size:           8
        .value_kind:     hidden_queue_ptr
    .group_segment_fixed_size: 512
    .kernarg_segment_align: 8
    .kernarg_segment_size: 304
    .language:       OpenCL C
    .language_version:
      - 2
      - 0
    .max_flat_workgroup_size: 1024
    .name:           _Z16cuda_mat_J_PI_dpPKdPKiiS0_PdS0_
    .private_segment_fixed_size: 1040
    .sgpr_count:     108
    .sgpr_spill_count: 31
    .symbol:         _Z16cuda_mat_J_PI_dpPKdPKiiS0_PdS0_.kd
    .uniform_work_group_size: 1
    .uses_dynamic_stack: true
    .vgpr_count:     192
    .vgpr_spill_count: 1
    .wavefront_size: 32
    .workgroup_processor_mode: 1
  - .args:
      - .actual_access:  read_only
        .address_space:  global
        .offset:         0
        .size:           8
        .value_kind:     global_buffer
      - .actual_access:  read_only
        .address_space:  global
        .offset:         8
        .size:           8
        .value_kind:     global_buffer
      - .offset:         16
        .size:           4
        .value_kind:     by_value
      - .actual_access:  read_only
        .address_space:  global
        .offset:         24
        .size:           8
        .value_kind:     global_buffer
      - .actual_access:  write_only
        .address_space:  global
        .offset:         32
        .size:           8
        .value_kind:     global_buffer
      - .actual_access:  read_only
        .address_space:  global
        .offset:         40
        .size:           8
        .value_kind:     global_buffer
      - .offset:         48
        .size:           4
        .value_kind:     hidden_block_count_x
      - .offset:         52
        .size:           4
        .value_kind:     hidden_block_count_y
      - .offset:         56
        .size:           4
        .value_kind:     hidden_block_count_z
      - .offset:         60
        .size:           2
        .value_kind:     hidden_group_size_x
      - .offset:         62
        .size:           2
        .value_kind:     hidden_group_size_y
      - .offset:         64
        .size:           2
        .value_kind:     hidden_group_size_z
      - .offset:         66
        .size:           2
        .value_kind:     hidden_remainder_x
      - .offset:         68
        .size:           2
        .value_kind:     hidden_remainder_y
      - .offset:         70
        .size:           2
        .value_kind:     hidden_remainder_z
      - .offset:         88
        .size:           8
        .value_kind:     hidden_global_offset_x
      - .offset:         96
        .size:           8
        .value_kind:     hidden_global_offset_y
      - .offset:         104
        .size:           8
        .value_kind:     hidden_global_offset_z
      - .offset:         112
        .size:           2
        .value_kind:     hidden_grid_dims
      - .offset:         128
        .size:           8
        .value_kind:     hidden_hostcall_buffer
      - .offset:         136
        .size:           8
        .value_kind:     hidden_multigrid_sync_arg
      - .offset:         144
        .size:           8
        .value_kind:     hidden_heap_v1
      - .offset:         152
        .size:           8
        .value_kind:     hidden_default_queue
      - .offset:         160
        .size:           8
        .value_kind:     hidden_completion_action
      - .offset:         248
        .size:           8
        .value_kind:     hidden_queue_ptr
    .group_segment_fixed_size: 512
    .kernarg_segment_align: 8
    .kernarg_segment_size: 304
    .language:       OpenCL C
    .language_version:
      - 2
      - 0
    .max_flat_workgroup_size: 1024
    .name:           _Z16cuda_mat_K_PI_dpPKdPKiiS0_PdS0_
    .private_segment_fixed_size: 1040
    .sgpr_count:     108
    .sgpr_spill_count: 34
    .symbol:         _Z16cuda_mat_K_PI_dpPKdPKiiS0_PdS0_.kd
    .uniform_work_group_size: 1
    .uses_dynamic_stack: true
    .vgpr_count:     192
    .vgpr_spill_count: 4
    .wavefront_size: 32
    .workgroup_processor_mode: 1
amdhsa.target:   amdgcn-amd-amdhsa--gfx1100
amdhsa.version:
  - 1
  - 2
...

	.end_amdgpu_metadata
